;; amdgpu-corpus repo=ROCm/aiter kind=harvested arch=n/a opt=n/a

/root/src/amdgpu-assembly/repos/ROCm__aiter/hsa/gfx942/fmha_v3_fwd/MI308/fwd_hd128_fp8.co:	file format elf64-amdgpu

Disassembly of section .text:

0000000000003b00 <_ZN5aiter18fmha_fwd_hd128_fp8E>:
	s_and_b32 s1, s1, 0xffff                                   // 000000003B00: 8601FF01 0000FFFF
	s_load_dwordx2 s[20:21], s[0:1], 0x0                       // 000000003B08: C0060500 00000000
	s_load_dwordx2 s[8:9], s[0:1], 0x10                        // 000000003B10: C0060200 00000010
	s_load_dwordx2 s[12:13], s[0:1], 0x20                      // 000000003B18: C0060300 00000020
	s_load_dwordx2 s[16:17], s[0:1], 0x30                      // 000000003B20: C0060400 00000030
	s_load_dwordx2 s[24:25], s[0:1], 0x40                      // 000000003B28: C0060600 00000040
	s_load_dword s28, s[0:1], 0x50                             // 000000003B30: C0020700 00000050
	s_load_dword s29, s[0:1], 0x60                             // 000000003B38: C0020740 00000060
	s_load_dword s41, s[0:1], 0x70                             // 000000003B40: C0020A40 00000070
	s_load_dword s30, s[0:1], 0x80                             // 000000003B48: C0020780 00000080
	s_load_dword s77, s[0:1], 0x90                             // 000000003B50: C0021340 00000090
	s_load_dword s78, s[0:1], 0xa0                             // 000000003B58: C0021380 000000A0
	s_load_dword s79, s[0:1], 0xb0                             // 000000003B60: C00213C0 000000B0
	s_load_dword s40, s[0:1], 0xc0                             // 000000003B68: C0020A00 000000C0
	s_load_dword s80, s[0:1], 0xd0                             // 000000003B70: C0021400 000000D0
	s_load_dword s81, s[0:1], 0xe0                             // 000000003B78: C0021440 000000E0
	s_load_dword s31, s[0:1], 0xf0                             // 000000003B80: C00207C0 000000F0
	s_load_dword s33, s[0:1], 0x100                            // 000000003B88: C0020840 00000100
	s_load_dword s7, s[0:1], 0x110                             // 000000003B90: C00201C0 00000110
	s_load_dword s76, s[0:1], 0x140                            // 000000003B98: C0021300 00000140
	s_load_dword s43, s[0:1], 0x150                            // 000000003BA0: C0020AC0 00000150
	s_load_dword s67, s[0:1], 0x160                            // 000000003BA8: C00210C0 00000160
	s_load_dword s68, s[0:1], 0x170                            // 000000003BB0: C0021100 00000170
	s_load_dword s44, s[0:1], 0x180                            // 000000003BB8: C0020B00 00000180
	s_load_dword s69, s[0:1], 0x190                            // 000000003BC0: C0021140 00000190
	s_load_dword s70, s[0:1], 0x1a0                            // 000000003BC8: C0021180 000001A0
	s_load_dwordx2 s[50:51], s[0:1], 0x1b0                     // 000000003BD0: C0060C80 000001B0
	s_load_dwordx2 s[52:53], s[0:1], 0x1c0                     // 000000003BD8: C0060D00 000001C0
	s_load_dword s71, s[0:1], 0x1d0                            // 000000003BE0: C00211C0 000001D0
	s_load_dwordx2 s[54:55], s[0:1], 0x1e0                     // 000000003BE8: C0060D80 000001E0
	s_load_dwordx2 s[56:57], s[0:1], 0x1f0                     // 000000003BF0: C0060E00 000001F0
	s_load_dwordx2 s[58:59], s[0:1], 0x200                     // 000000003BF8: C0060E80 00000200
	s_load_dwordx2 s[60:61], s[0:1], 0x210                     // 000000003C00: C0060F00 00000210
	s_load_dwordx2 s[62:63], s[0:1], 0x220                     // 000000003C08: C0060F80 00000220
	s_load_dword s82, s[0:1], 0x230                            // 000000003C10: C0021480 00000230
	s_load_dword s83, s[0:1], 0x240                            // 000000003C18: C00214C0 00000240
	s_load_dword s84, s[0:1], 0x250                            // 000000003C20: C0021500 00000250
	s_load_dword s85, s[0:1], 0x260                            // 000000003C28: C0021540 00000260
	s_load_dword s86, s[0:1], 0x270                            // 000000003C30: C0021580 00000270
	s_load_dword s87, s[0:1], 0x280                            // 000000003C38: C00215C0 00000280
	v_lshrrev_b32_e32 v1, 10, v0                               // 000000003C40: 2002008A
	v_lshrrev_b32_e32 v2, 10, v1                               // 000000003C44: 2004028A
	v_and_b32_e32 v2, 0x3ff, v2                                // 000000003C48: 260404FF 000003FF
	v_and_b32_e32 v1, 0x3ff, v1                                // 000000003C50: 260202FF 000003FF
	v_and_b32_e32 v0, 0x3ff, v0                                // 000000003C58: 260000FF 000003FF
	v_lshrrev_b32_e32 v3, 6, v0                                // 000000003C60: 20060086
	v_and_b32_e32 v0, 63, v0                                   // 000000003C64: 260000BF
	s_mov_b32 s2, s2                                           // 000000003C68: BE820002
	s_mov_b32 s3, s3                                           // 000000003C6C: BE830003
	s_mov_b32 s4, s4                                           // 000000003C70: BE840004
	v_readfirstlane_b32 s5, v3                                 // 000000003C74: 7E0A0503
	s_waitcnt lgkmcnt(0)                                       // 000000003C78: BF8CC07F
	s_mul_i32 s34, s29, s41                                    // 000000003C7C: 9222291D
	s_mov_b32 s10, s34                                         // 000000003C80: BE8A0022
	s_mul_i32 s34, s29, s44                                    // 000000003C84: 92222C1D
	s_mov_b32 s22, s34                                         // 000000003C88: BE960022
	s_mul_i32 s34, s7, s40                                     // 000000003C8C: 92222807
	s_mov_b32 s14, s34                                         // 000000003C90: BE8E0022
	s_mul_i32 s34, s7, s43                                     // 000000003C94: 92222B07
	s_mov_b32 s18, s34                                         // 000000003C98: BE920022
	s_mul_i32 s34, s29, 4                                      // 000000003C9C: 9222841D
	s_mov_b32 s26, s34                                         // 000000003CA0: BE9A0022
	s_mov_b32 s23, 0x20000                                     // 000000003CA4: BE9700FF 00020000
	s_mov_b32 s11, 0x20000                                     // 000000003CAC: BE8B00FF 00020000
	s_mov_b32 s15, 0x20000                                     // 000000003CB4: BE8F00FF 00020000
	s_mov_b32 s19, 0x20000                                     // 000000003CBC: BE9300FF 00020000
	s_mov_b32 s27, 0x20000                                     // 000000003CC4: BE9B00FF 00020000
	s_and_b32 s21, s21, 0xffff                                 // 000000003CCC: 8615FF15 0000FFFF
	s_and_b32 s9, s9, 0xffff                                   // 000000003CD4: 8609FF09 0000FFFF
	s_and_b32 s13, s13, 0xffff                                 // 000000003CDC: 860DFF0D 0000FFFF
	s_and_b32 s17, s17, 0xffff                                 // 000000003CE4: 8611FF11 0000FFFF
	s_and_b32 s25, s25, 0xffff                                 // 000000003CEC: 8619FF19 0000FFFF
	s_nop 0                                                    // 000000003CF4: BF800000
	s_nop 0                                                    // 000000003CF8: BF800000
	s_mov_b32 s64, s3                                          // 000000003CFC: BEC00003
	s_mov_b32 s65, s79                                         // 000000003D00: BEC1004F
	v_cvt_f32_u32_e32 v16, s65                                 // 000000003D04: 7E200C41
	s_sub_i32 s34, 0, s65                                      // 000000003D08: 81A24180
	v_rcp_iflag_f32_e32 v16, v16                               // 000000003D0C: 7E204710
	s_nop 0                                                    // 000000003D10: BF800000
	v_mul_f32_e32 v16, 0x4f7ffffe, v16                         // 000000003D14: 0A2020FF 4F7FFFFE
	v_cvt_u32_f32_e32 v16, v16                                 // 000000003D1C: 7E200F10
	v_mul_lo_u32 v17, s34, v16                                 // 000000003D20: D2850011 00022022
	v_mul_hi_u32 v17, v16, v17                                 // 000000003D28: D2860011 00022310
	v_add_u32_e32 v16, v16, v17                                // 000000003D30: 68202310
	v_mul_hi_u32 v16, s64, v16                                 // 000000003D34: D2860010 00022040
	v_mul_lo_u32 v17, v16, s65                                 // 000000003D3C: D2850011 00008310
	v_sub_u32_e32 v19, s64, v17                                // 000000003D44: 6A262240
	v_add_u32_e32 v18, 1, v16                                  // 000000003D48: 68242081
	v_cmp_le_u32_e32 vcc, s65, v19                             // 000000003D4C: 7D962641
	v_subrev_u32_e32 v17, s65, v19                             // 000000003D50: 6C222641
	s_nop 0                                                    // 000000003D54: BF800000
	v_cndmask_b32_e32 v16, v16, v18, vcc                       // 000000003D58: 00202510
	v_cndmask_b32_e32 v19, v19, v17, vcc                       // 000000003D5C: 00262313
	v_add_u32_e32 v17, 1, v16                                  // 000000003D60: 68222081
	v_cmp_le_u32_e32 vcc, s65, v19                             // 000000003D64: 7D962641
	s_nop 1                                                    // 000000003D68: BF800001
	v_cndmask_b32_e32 v19, v16, v17, vcc                       // 000000003D6C: 00262310
	s_nop 3                                                    // 000000003D70: BF800003
	v_readfirstlane_b32 s66, v19                               // 000000003D74: 7E840513
	s_nop 3                                                    // 000000003D78: BF800003
	v_mov_b32_e32 v41, 0xffff0000                              // 000000003D7C: 7E5202FF FFFF0000
	v_mov_b32_e32 v42, 0x7fff0000                              // 000000003D84: 7E5402FF 7FFF0000
	v_mov_b32_e32 v43, 0x7fff                                  // 000000003D8C: 7E5602FF 00007FFF
	v_lshrrev_b32_e32 v16, 5, v0                               // 000000003D94: 20200085
	v_sub_u32_e32 v16, 1, v16                                  // 000000003D98: 6A202081
	v_mul_i32_i24_e32 v32, 0x80, v16                           // 000000003D9C: 0C4020FF 00000080
	v_and_b32_e32 v16, 31, v0                                  // 000000003DA4: 2620009F
	v_mul_i32_i24_e32 v16, 4, v16                              // 000000003DA8: 0C202084
	v_add_u32_e32 v32, v16, v32                                // 000000003DAC: 68404110
	s_mul_i32 s34, s4, s78                                     // 000000003DB0: 92224E04
	s_mul_hi_u32 s36, s4, s78                                  // 000000003DB4: 96244E04
	s_and_b32 s36, s36, 0xffff                                 // 000000003DB8: 8624FF24 0000FFFF
	s_mul_i32 s35, s3, s77                                     // 000000003DC0: 92234D03
	s_add_u32 s34, s34, s35                                    // 000000003DC4: 80222322
	s_add_u32 s8, s34, s8                                      // 000000003DC8: 80080822
	s_addc_u32 s9, s36, s9                                     // 000000003DCC: 82090924
	s_mul_i32 s34, s4, s70                                     // 000000003DD0: 92224604
	s_mul_hi_u32 s36, s4, s70                                  // 000000003DD4: 96244604
	s_and_b32 s36, s36, 0xffff                                 // 000000003DD8: 8624FF24 0000FFFF
	s_mul_i32 s35, s3, s69                                     // 000000003DE0: 92234503
	s_add_u32 s34, s34, s35                                    // 000000003DE4: 80222322
	s_add_u32 s20, s34, s20                                    // 000000003DE8: 80141422
	s_addc_u32 s21, s36, s21                                   // 000000003DEC: 82151524
	s_mul_i32 s34, s76, s71                                    // 000000003DF0: 9222474C
	s_mul_i32 s34, s4, s34                                     // 000000003DF4: 92222204
	s_mul_i32 s35, s3, s71                                     // 000000003DF8: 92234703
	s_nop 0                                                    // 000000003DFC: BF800000
	s_add_i32 s34, s34, s35                                    // 000000003E00: 81222322
	s_add_u32 s24, s34, s24                                    // 000000003E04: 80181822
	s_addc_u32 s25, 0, s25                                     // 000000003E08: 82191980
	s_mul_i32 s34, s4, s81                                     // 000000003E0C: 92225104
	s_mul_hi_u32 s36, s4, s81                                  // 000000003E10: 96245104
	s_and_b32 s36, s36, 0xffff                                 // 000000003E14: 8624FF24 0000FFFF
	s_mul_i32 s35, s66, s80                                    // 000000003E1C: 92235042
	s_add_u32 s34, s34, s35                                    // 000000003E20: 80222322
	s_add_u32 s12, s34, s12                                    // 000000003E24: 800C0C22
	s_addc_u32 s13, s36, s13                                   // 000000003E28: 820D0D24
	s_mul_i32 s34, s4, s68                                     // 000000003E2C: 92224404
	s_mul_hi_u32 s36, s4, s68                                  // 000000003E30: 96244404
	s_and_b32 s36, s36, 0xffff                                 // 000000003E34: 8624FF24 0000FFFF
	s_mul_i32 s35, s66, s67                                    // 000000003E3C: 92234342
	s_add_u32 s34, s34, s35                                    // 000000003E40: 80222322
	s_add_u32 s16, s34, s16                                    // 000000003E44: 80101022
	s_addc_u32 s17, s36, s17                                   // 000000003E48: 82111124
	s_and_b32 s59, s59, 0xffff                                 // 000000003E4C: 863BFF3B 0000FFFF
	s_and_b32 s61, s61, 0xffff                                 // 000000003E54: 863DFF3D 0000FFFF
	s_and_b32 s63, s63, 0xffff                                 // 000000003E5C: 863FFF3F 0000FFFF
	s_mul_i32 s34, s4, s82                                     // 000000003E64: 92225204
	s_mul_i32 s35, s66, s83                                    // 000000003E68: 92235342
	s_add_u32 s34, s35, s34                                    // 000000003E6C: 80222223
	s_load_dword s37, s[58:59], s34                            // 000000003E70: C000095D 00000022
	s_mul_i32 s34, s4, s84                                     // 000000003E78: 92225404
	s_mul_i32 s35, s66, s85                                    // 000000003E7C: 92235542
	s_add_u32 s34, s35, s34                                    // 000000003E80: 80222223
	s_load_dword s38, s[60:61], s34                            // 000000003E84: C000099E 00000022
	s_mul_i32 s34, s4, s86                                     // 000000003E8C: 92225604
	s_mul_i32 s35, s66, s87                                    // 000000003E90: 92235742
	s_add_u32 s34, s35, s34                                    // 000000003E94: 80222223
	s_load_dword s39, s[62:63], s34                            // 000000003E98: C00009DF 00000022
	s_waitcnt lgkmcnt(0)                                       // 000000003EA0: BF8CC07F
	s_mov_b32 s72, 0                                           // 000000003EA4: BEC80080
	s_mov_b32 s73, 64                                          // 000000003EA8: BEC900C0
	s_mov_b32 s60, 0                                           // 000000003EAC: BEBC0080
	s_mov_b32 s61, 0x3fb8aa3b                                  // 000000003EB0: BEBD00FF 3FB8AA3B
	v_mov_b32_e32 v31, 0xff800000                              // 000000003EB8: 7E3E02FF FF800000
	s_mov_b32 s56, 0                                           // 000000003EC0: BEB80080
	s_mov_b32 s57, 0                                           // 000000003EC4: BEB90080
	s_mov_b32 s32, 0                                           // 000000003EC8: BEA00080
	s_mul_i32 s64, 64, s40                                     // 000000003ECC: 924028C0
	s_mul_i32 s65, 64, s43                                     // 000000003ED0: 92412BC0
	s_lshr_b32 s76, s7, 6                                      // 000000003ED4: 8F4C8607
	s_lshl_b32 s76, s76, 6                                     // 000000003ED8: 8E4C864C
	s_mov_b32 s67, 0x7060302                                   // 000000003EDC: BEC300FF 07060302
	s_mov_b32 s68, 0x5040100                                   // 000000003EE4: BEC400FF 05040100
	s_mov_b32 s69, 0x5010400                                   // 000000003EEC: BEC500FF 05010400
	s_mov_b32 s70, 0x7030602                                   // 000000003EF4: BEC600FF 07030602
	v_lshrrev_b32_e32 v16, 5, v0                               // 000000003EFC: 20200085
	v_mul_i32_i24_e32 v30, 4, v16                              // 000000003F00: 0C3C2084
	s_mov_b32 s62, s7                                          // 000000003F04: BEBE0007
	s_nop 0                                                    // 000000003F08: BF800000
	s_mov_b32 s63, 0                                           // 000000003F0C: BEBF0080
	v_mov_b32_e32 v17, s61                                     // 000000003F10: 7E22023D
	v_mov_b32_e32 v16, s28                                     // 000000003F14: 7E20021C
	v_mul_f32_e32 v16, s61, v16                                // 000000003F18: 0A20203D
	v_rcp_f32_e32 v17, v17                                     // 000000003F1C: 7E224511
	v_mov_b32_e32 v22, 0                                       // 000000003F20: 7E2C0280
	v_mov_b32_e32 v28, 0xff7fffff                              // 000000003F24: 7E3802FF FF7FFFFF
	v_mov_b32_e32 v20, 0                                       // 000000003F2C: 7E280280
	v_mov_b32_e32 v22, 0                                       // 000000003F30: 7E2C0280
	v_readfirstlane_b32 s74, v16                               // 000000003F34: 7E940510
	v_readfirstlane_b32 s66, v17                               // 000000003F38: 7E840511
	s_waitcnt lgkmcnt(0)                                       // 000000003F3C: BF8CC07F
	v_mov_b32_e32 v16, s37                                     // 000000003F40: 7E200225
	v_mul_f32_e32 v16, s38, v16                                // 000000003F44: 0A202026
	v_mul_f32_e32 v17, s74, v16                                // 000000003F48: 0A22204A
	v_mul_f32_e32 v19, s28, v16                                // 000000003F4C: 0A26201C
	v_readfirstlane_b32 s74, v17                               // 000000003F50: 7E940511
	v_readfirstlane_b32 s28, v19                               // 000000003F54: 7E380513
	v_rcp_f32_e32 v16, v16                                     // 000000003F58: 7E204510
	s_nop 1                                                    // 000000003F5C: BF800001
	v_mul_f32_e32 v16, v28, v16                                // 000000003F60: 0A20211C
	v_max_f32_e32 v28, v28, v16                                // 000000003F64: 1638211C
	s_mul_i32 s42, s2, s30                                     // 000000003F68: 922A1E02
	v_and_b32_e32 v16, 31, v0                                  // 000000003F6C: 2620009F
	v_lshlrev_b32_e32 v8, 2, v16                               // 000000003F70: 24102082
	v_lshrrev_b32_e32 v16, 5, v0                               // 000000003F74: 20200085
	s_mul_i32 s34, 16, s41                                     // 000000003F78: 92222990
	v_mul_i32_i24_e32 v16, s34, v16                            // 000000003F7C: 0C202022
	v_add_u32_e32 v8, v8, v16                                  // 000000003F80: 68102108
	s_mul_i32 s34, s5, s41                                     // 000000003F84: 92222905
	v_add_u32_e32 v8, s34, v8                                  // 000000003F88: 68101022
	s_mul_i32 s35, 8, s41                                      // 000000003F8C: 92232988
	v_add_u32_e32 v9, s35, v8                                  // 000000003F90: 68121023
	v_add_u32_e32 v8, s42, v8                                  // 000000003F94: 6810102A
	v_add_u32_e32 v9, s42, v9                                  // 000000003F98: 6812122A
	s_mul_i32 s34, s5, 0x110                                   // 000000003F9C: 9222FF05 00000110
	s_add_u32 s55, 0x4400, s34                                 // 000000003FA4: 803722FF 00004400
	s_mov_b32 s75, s74                                         // 000000003FAC: BECB004A
	s_mov_b32 s34, 0                                           // 000000003FB0: BEA20080
	s_add_u32 m0, s34, s55                                     // 000000003FB4: 807C3722
	s_mul_i32 s34, 0, s41                                      // 000000003FB8: 92222980
	v_add_u32_e32 v4, s34, v8                                  // 000000003FBC: 68081022
	v_add_u32_e32 v5, s34, v9                                  // 000000003FC0: 680A1222
	buffer_load_dword v4, s[8:11], s56 offen lds               // 000000003FC4: E0511000 38020004
	s_add_u32 m0, 0x880, m0                                    // 000000003FCC: 807C7CFF 00000880
	buffer_load_dword v5, s[8:11], s56 offen lds               // 000000003FD4: E0511000 38020005
	s_add_u32 m0, 0x880, m0                                    // 000000003FDC: 807C7CFF 00000880
	s_mov_b32 s34, 0x1100                                      // 000000003FE4: BEA200FF 00001100
	s_add_u32 m0, s34, s55                                     // 000000003FEC: 807C3722
	s_mul_i32 s34, 32, s41                                     // 000000003FF0: 922229A0
	v_add_u32_e32 v4, s34, v8                                  // 000000003FF4: 68081022
	v_add_u32_e32 v5, s34, v9                                  // 000000003FF8: 680A1222
	buffer_load_dword v4, s[8:11], s56 offen lds               // 000000003FFC: E0511000 38020004
	s_add_u32 m0, 0x880, m0                                    // 000000004004: 807C7CFF 00000880
	buffer_load_dword v5, s[8:11], s56 offen lds               // 00000000400C: E0511000 38020005
	s_add_u32 m0, 0x880, m0                                    // 000000004014: 807C7CFF 00000880
	s_mov_b32 s34, 0x2200                                      // 00000000401C: BEA200FF 00002200
	s_add_u32 m0, s34, s55                                     // 000000004024: 807C3722
	s_mul_i32 s34, 64, s41                                     // 000000004028: 922229C0
	v_add_u32_e32 v4, s34, v8                                  // 00000000402C: 68081022
	v_add_u32_e32 v5, s34, v9                                  // 000000004030: 680A1222
	buffer_load_dword v4, s[8:11], s56 offen lds               // 000000004034: E0511000 38020004
	s_add_u32 m0, 0x880, m0                                    // 00000000403C: 807C7CFF 00000880
	buffer_load_dword v5, s[8:11], s56 offen lds               // 000000004044: E0511000 38020005
	s_add_u32 m0, 0x880, m0                                    // 00000000404C: 807C7CFF 00000880
	s_mov_b32 s34, 0x3300                                      // 000000004054: BEA200FF 00003300
	s_add_u32 m0, s34, s55                                     // 00000000405C: 807C3722
	s_mul_i32 s34, 0x60, s41                                   // 000000004060: 922229FF 00000060
	v_add_u32_e32 v4, s34, v8                                  // 000000004068: 68081022
	v_add_u32_e32 v5, s34, v9                                  // 00000000406C: 680A1222
	buffer_load_dword v4, s[8:11], s56 offen lds               // 000000004070: E0511000 38020004
	s_add_u32 m0, 0x880, m0                                    // 000000004078: 807C7CFF 00000880
	buffer_load_dword v5, s[8:11], s56 offen lds               // 000000004080: E0511000 38020005
	s_add_u32 m0, 0x880, m0                                    // 000000004088: 807C7CFF 00000880
	v_mov_b32_e32 v112, 0                                      // 000000004090: 7EE00280
	v_mov_b32_e32 v113, 0                                      // 000000004094: 7EE20280
	v_mov_b32_e32 v114, 0                                      // 000000004098: 7EE40280
	v_mov_b32_e32 v115, 0                                      // 00000000409C: 7EE60280
	v_mov_b32_e32 v116, 0                                      // 0000000040A0: 7EE80280
	v_mov_b32_e32 v117, 0                                      // 0000000040A4: 7EEA0280
	v_mov_b32_e32 v118, 0                                      // 0000000040A8: 7EEC0280
	v_mov_b32_e32 v119, 0                                      // 0000000040AC: 7EEE0280
	v_mov_b32_e32 v120, 0                                      // 0000000040B0: 7EF00280
	v_mov_b32_e32 v121, 0                                      // 0000000040B4: 7EF20280
	v_mov_b32_e32 v122, 0                                      // 0000000040B8: 7EF40280
	v_mov_b32_e32 v123, 0                                      // 0000000040BC: 7EF60280
	v_mov_b32_e32 v124, 0                                      // 0000000040C0: 7EF80280
	v_mov_b32_e32 v125, 0                                      // 0000000040C4: 7EFA0280
	v_mov_b32_e32 v126, 0                                      // 0000000040C8: 7EFC0280
	v_mov_b32_e32 v127, 0                                      // 0000000040CC: 7EFE0280
	v_mov_b32_e32 v128, 0                                      // 0000000040D0: 7F000280
	v_mov_b32_e32 v129, 0                                      // 0000000040D4: 7F020280
	v_mov_b32_e32 v130, 0                                      // 0000000040D8: 7F040280
	v_mov_b32_e32 v131, 0                                      // 0000000040DC: 7F060280
	v_mov_b32_e32 v132, 0                                      // 0000000040E0: 7F080280
	v_mov_b32_e32 v133, 0                                      // 0000000040E4: 7F0A0280
	v_mov_b32_e32 v134, 0                                      // 0000000040E8: 7F0C0280
	v_mov_b32_e32 v135, 0                                      // 0000000040EC: 7F0E0280
	v_mov_b32_e32 v136, 0                                      // 0000000040F0: 7F100280
	v_mov_b32_e32 v137, 0                                      // 0000000040F4: 7F120280
	v_mov_b32_e32 v138, 0                                      // 0000000040F8: 7F140280
	v_mov_b32_e32 v139, 0                                      // 0000000040FC: 7F160280
	v_mov_b32_e32 v140, 0                                      // 000000004100: 7F180280
	v_mov_b32_e32 v141, 0                                      // 000000004104: 7F1A0280
	v_mov_b32_e32 v142, 0                                      // 000000004108: 7F1C0280
	v_mov_b32_e32 v143, 0                                      // 00000000410C: 7F1E0280
	v_lshrrev_b32_e32 v16, 5, v0                               // 000000004110: 20200085
	v_mul_i32_i24_e32 v17, 4, v16                              // 000000004114: 0C222084
	v_and_b32_e32 v16, 15, v0                                  // 000000004118: 2620008F
	v_mul_i32_i24_e32 v2, 0x44, v16                            // 00000000411C: 0C0420FF 00000044
	v_add_u32_e32 v2, v2, v17                                  // 000000004124: 68042302
	v_and_b32_e32 v16, 31, v0                                  // 000000004128: 2620009F
	v_lshrrev_b32_e32 v17, 4, v16                              // 00000000412C: 20222084
	v_lshlrev_b32_e32 v16, 5, v17                              // 000000004130: 24202285
	v_add_u32_e32 v2, v2, v16                                  // 000000004134: 68042102
	v_lshlrev_b32_e32 v2, 2, v2                                // 000000004138: 24040482
	s_and_b32 s34, 3, s5                                       // 00000000413C: 86220583
	s_mul_i32 s34, s34, 0x1100                                 // 000000004140: 9222FF22 00001100
	v_add_u32_e32 v2, s34, v2                                  // 000000004148: 68040422
	s_waitcnt vmcnt(0) expcnt(0) lgkmcnt(0)                    // 00000000414C: BF8C0000
	s_barrier                                                  // 000000004150: BF8A0000
	s_cmp_lt_i32 s5, 4                                         // 000000004154: BF048405
	s_cbranch_scc0 label_019F                                  // 000000004158: BF840008
	ds_read_b128 v[176:179], v2 offset:17408                   // 00000000415C: D9FE4400 B0000002
	ds_read_b128 v[180:183], v2 offset:17440                   // 000000004164: D9FE4420 B4000002
	ds_read_b128 v[184:187], v2 offset:17472                   // 00000000416C: D9FE4440 B8000002
	ds_read_b128 v[188:191], v2 offset:17504                   // 000000004174: D9FE4460 BC000002

000000000000417c <label_019F>:
	s_waitcnt vmcnt(0) expcnt(0) lgkmcnt(0)                    // 00000000417C: BF8C0000
	s_barrier                                                  // 000000004180: BF8A0000
	s_mov_b32 s34, 0                                           // 000000004184: BEA20080
	s_add_u32 m0, s34, s55                                     // 000000004188: 807C3722
	s_mul_i32 s34, 0x80, s41                                   // 00000000418C: 922229FF 00000080
	v_add_u32_e32 v4, s34, v8                                  // 000000004194: 68081022
	v_add_u32_e32 v5, s34, v9                                  // 000000004198: 680A1222
	buffer_load_dword v4, s[8:11], s56 offen lds               // 00000000419C: E0511000 38020004
	s_add_u32 m0, 0x880, m0                                    // 0000000041A4: 807C7CFF 00000880
	buffer_load_dword v5, s[8:11], s56 offen lds               // 0000000041AC: E0511000 38020005
	s_add_u32 m0, 0x880, m0                                    // 0000000041B4: 807C7CFF 00000880
	s_mov_b32 s34, 0x1100                                      // 0000000041BC: BEA200FF 00001100
	s_add_u32 m0, s34, s55                                     // 0000000041C4: 807C3722
	s_mul_i32 s34, 0xa0, s41                                   // 0000000041C8: 922229FF 000000A0
	v_add_u32_e32 v4, s34, v8                                  // 0000000041D0: 68081022
	v_add_u32_e32 v5, s34, v9                                  // 0000000041D4: 680A1222
	buffer_load_dword v4, s[8:11], s56 offen lds               // 0000000041D8: E0511000 38020004
	s_add_u32 m0, 0x880, m0                                    // 0000000041E0: 807C7CFF 00000880
	buffer_load_dword v5, s[8:11], s56 offen lds               // 0000000041E8: E0511000 38020005
	s_add_u32 m0, 0x880, m0                                    // 0000000041F0: 807C7CFF 00000880
	s_mov_b32 s34, 0x2200                                      // 0000000041F8: BEA200FF 00002200
	s_add_u32 m0, s34, s55                                     // 000000004200: 807C3722
	s_mul_i32 s34, 0xc0, s41                                   // 000000004204: 922229FF 000000C0
	v_add_u32_e32 v4, s34, v8                                  // 00000000420C: 68081022
	v_add_u32_e32 v5, s34, v9                                  // 000000004210: 680A1222
	buffer_load_dword v4, s[8:11], s56 offen lds               // 000000004214: E0511000 38020004
	s_add_u32 m0, 0x880, m0                                    // 00000000421C: 807C7CFF 00000880
	buffer_load_dword v5, s[8:11], s56 offen lds               // 000000004224: E0511000 38020005
	s_add_u32 m0, 0x880, m0                                    // 00000000422C: 807C7CFF 00000880
	s_mov_b32 s34, 0x3300                                      // 000000004234: BEA200FF 00003300
	s_add_u32 m0, s34, s55                                     // 00000000423C: 807C3722
	s_mul_i32 s34, 0xe0, s41                                   // 000000004240: 922229FF 000000E0
	v_add_u32_e32 v4, s34, v8                                  // 000000004248: 68081022
	v_add_u32_e32 v5, s34, v9                                  // 00000000424C: 680A1222
	buffer_load_dword v4, s[8:11], s56 offen lds               // 000000004250: E0511000 38020004
	s_add_u32 m0, 0x880, m0                                    // 000000004258: 807C7CFF 00000880
	buffer_load_dword v5, s[8:11], s56 offen lds               // 000000004260: E0511000 38020005
	s_add_u32 m0, 0x880, m0                                    // 000000004268: 807C7CFF 00000880
	v_mov_b32_e32 v144, 0                                      // 000000004270: 7F200280
	v_mov_b32_e32 v145, 0                                      // 000000004274: 7F220280
	v_mov_b32_e32 v146, 0                                      // 000000004278: 7F240280
	v_mov_b32_e32 v147, 0                                      // 00000000427C: 7F260280
	v_mov_b32_e32 v148, 0                                      // 000000004280: 7F280280
	v_mov_b32_e32 v149, 0                                      // 000000004284: 7F2A0280
	v_mov_b32_e32 v150, 0                                      // 000000004288: 7F2C0280
	v_mov_b32_e32 v151, 0                                      // 00000000428C: 7F2E0280
	v_mov_b32_e32 v152, 0                                      // 000000004290: 7F300280
	v_mov_b32_e32 v153, 0                                      // 000000004294: 7F320280
	v_mov_b32_e32 v154, 0                                      // 000000004298: 7F340280
	v_mov_b32_e32 v155, 0                                      // 00000000429C: 7F360280
	v_mov_b32_e32 v156, 0                                      // 0000000042A0: 7F380280
	v_mov_b32_e32 v157, 0                                      // 0000000042A4: 7F3A0280
	v_mov_b32_e32 v158, 0                                      // 0000000042A8: 7F3C0280
	v_mov_b32_e32 v159, 0                                      // 0000000042AC: 7F3E0280
	v_mov_b32_e32 v160, 0                                      // 0000000042B0: 7F400280
	v_mov_b32_e32 v161, 0                                      // 0000000042B4: 7F420280
	v_mov_b32_e32 v162, 0                                      // 0000000042B8: 7F440280
	v_mov_b32_e32 v163, 0                                      // 0000000042BC: 7F460280
	v_mov_b32_e32 v164, 0                                      // 0000000042C0: 7F480280
	v_mov_b32_e32 v165, 0                                      // 0000000042C4: 7F4A0280
	v_mov_b32_e32 v166, 0                                      // 0000000042C8: 7F4C0280
	v_mov_b32_e32 v167, 0                                      // 0000000042CC: 7F4E0280
	v_mov_b32_e32 v168, 0                                      // 0000000042D0: 7F500280
	v_mov_b32_e32 v169, 0                                      // 0000000042D4: 7F520280
	v_mov_b32_e32 v170, 0                                      // 0000000042D8: 7F540280
	v_mov_b32_e32 v171, 0                                      // 0000000042DC: 7F560280
	v_mov_b32_e32 v172, 0                                      // 0000000042E0: 7F580280
	v_mov_b32_e32 v173, 0                                      // 0000000042E4: 7F5A0280
	v_mov_b32_e32 v174, 0                                      // 0000000042E8: 7F5C0280
	v_mov_b32_e32 v175, 0                                      // 0000000042EC: 7F5E0280
	s_cmp_le_u32 s7, 0                                         // 0000000042F0: BF0B8007
	s_cbranch_scc1 label_0EC5                                  // 0000000042F4: BF850CC7
	v_lshrrev_b32_e32 v16, 5, v0                               // 0000000042F8: 20200085
	v_mul_i32_i24_e32 v17, 4, v16                              // 0000000042FC: 0C222084
	v_and_b32_e32 v16, 15, v0                                  // 000000004300: 2620008F
	v_mul_i32_i24_e32 v12, 0x44, v16                           // 000000004304: 0C1820FF 00000044
	v_add_u32_e32 v12, v12, v17                                // 00000000430C: 6818230C
	v_and_b32_e32 v16, 31, v0                                  // 000000004310: 2620009F
	v_lshrrev_b32_e32 v17, 4, v16                              // 000000004314: 20222084
	v_lshlrev_b32_e32 v16, 5, v17                              // 000000004318: 24202285
	v_add_u32_e32 v12, v12, v16                                // 00000000431C: 6818210C
	v_lshlrev_b32_e32 v12, 2, v12                              // 000000004320: 24181882
	v_lshrrev_b32_e32 v16, 5, v0                               // 000000004324: 20200085
	v_mul_i32_i24_e32 v17, 32, v16                             // 000000004328: 0C2220A0
	v_and_b32_e32 v16, 31, v0                                  // 00000000432C: 2620009F
	v_lshrrev_b32_e32 v16, 2, v16                              // 000000004330: 20202082
	v_add_u32_e32 v13, v17, v16                                // 000000004334: 681A2111
	v_and_b32_e32 v16, 3, v0                                   // 000000004338: 26200083
	v_mul_i32_i24_e32 v16, 0x208, v16                          // 00000000433C: 0C2020FF 00000208
	v_add_u32_e32 v13, v16, v13                                // 000000004344: 681A1B10
	v_lshlrev_b32_e32 v13, 2, v13                              // 000000004348: 241A1A82
	s_mul_i32 s34, s5, 64                                      // 00000000434C: 9222C005
	v_add_u32_e32 v14, s34, v0                                 // 000000004350: 681C0022
	v_lshlrev_b32_e32 v14, 2, v14                              // 000000004354: 241C1C82
	v_and_b32_e32 v16, 31, v0                                  // 000000004358: 2620009F
	v_lshlrev_b32_e32 v4, 2, v16                               // 00000000435C: 24082082
	v_lshrrev_b32_e32 v16, 5, v0                               // 000000004360: 20200085
	s_mul_i32 s34, 16, s40                                     // 000000004364: 92222890
	v_mul_i32_i24_e32 v16, s34, v16                            // 000000004368: 0C202022
	v_add_u32_e32 v4, v4, v16                                  // 00000000436C: 68082104
	s_mul_i32 s34, s5, s40                                     // 000000004370: 92222805
	v_add_u32_e32 v4, s34, v4                                  // 000000004374: 68080822
	s_mul_i32 s35, 8, s40                                      // 000000004378: 92232888
	v_add_u32_e32 v5, s35, v4                                  // 00000000437C: 680A0823
	s_mul_i32 s34, 32, s40                                     // 000000004380: 922228A0
	v_add_u32_e32 v6, s34, v4                                  // 000000004384: 680C0822
	v_add_u32_e32 v7, s34, v5                                  // 000000004388: 680E0A22
	s_mul_i32 s34, s5, 0x110                                   // 00000000438C: 9222FF05 00000110
	s_add_u32 s54, 0, s34                                      // 000000004394: 80362280
	s_add_u32 s55, 0x2200, s54                                 // 000000004398: 803736FF 00002200
	v_and_b32_e32 v16, 31, v0                                  // 0000000043A0: 2620009F
	v_lshlrev_b32_e32 v8, 2, v16                               // 0000000043A4: 24102082
	v_lshrrev_b32_e32 v16, 5, v0                               // 0000000043A8: 20200085
	v_lshlrev_b32_e32 v16, 2, v16                              // 0000000043AC: 24202082
	v_mul_i32_i24_e32 v16, s43, v16                            // 0000000043B0: 0C20202B
	v_add_u32_e32 v8, v16, v8                                  // 0000000043B4: 68101110
	s_mul_i32 s35, 8, s5                                       // 0000000043B8: 92230588
	s_mul_i32 s34, s35, s43                                    // 0000000043BC: 92222B23
	v_add_u32_e32 v8, s34, v8                                  // 0000000043C0: 68101022
	v_add_u32_e32 v9, s43, v8                                  // 0000000043C4: 6812102B
	v_add_u32_e32 v10, s43, v9                                 // 0000000043C8: 6814122B
	v_add_u32_e32 v11, s43, v10                                // 0000000043CC: 6816142B
	s_waitcnt vmcnt(0) expcnt(0) lgkmcnt(0)                    // 0000000043D0: BF8C0000
	s_barrier                                                  // 0000000043D4: BF8A0000
	s_cmp_lt_i32 s5, 4                                         // 0000000043D8: BF048405
	s_cbranch_scc1 label_0240                                  // 0000000043DC: BF850008
	ds_read_b128 v[176:179], v2 offset:17408                   // 0000000043E0: D9FE4400 B0000002
	ds_read_b128 v[180:183], v2 offset:17440                   // 0000000043E8: D9FE4420 B4000002
	ds_read_b128 v[184:187], v2 offset:17472                   // 0000000043F0: D9FE4440 B8000002
	ds_read_b128 v[188:191], v2 offset:17504                   // 0000000043F8: D9FE4460 BC000002

0000000000004400 <label_0240>:
	s_waitcnt vmcnt(0) expcnt(0) lgkmcnt(0)                    // 000000004400: BF8C0000
	s_barrier                                                  // 000000004404: BF8A0000
	s_mov_b32 m0, s54                                          // 000000004408: BEFC0036
	buffer_load_dword v4, s[12:15], s57 offen lds              // 00000000440C: E0511000 39030004
	s_add_u32 m0, 0x880, m0                                    // 000000004414: 807C7CFF 00000880
	buffer_load_dword v5, s[12:15], s57 offen lds              // 00000000441C: E0511000 39030005
	s_add_u32 m0, 0x880, m0                                    // 000000004424: 807C7CFF 00000880
	buffer_load_dword v6, s[12:15], s57 offen lds              // 00000000442C: E0511000 39030006
	s_add_u32 m0, 0x880, m0                                    // 000000004434: 807C7CFF 00000880
	buffer_load_dword v7, s[12:15], s57 offen lds              // 00000000443C: E0511000 39030007
	s_add_u32 m0, 0x880, m0                                    // 000000004444: 807C7CFF 00000880
	s_add_i32 s57, s64, s57                                    // 00000000444C: 81393940
	s_waitcnt vmcnt(0)                                         // 000000004450: BF8C0F70
	s_barrier                                                  // 000000004454: BF8A0000
	ds_read_b128 v[192:195], v12                               // 000000004458: D9FE0000 C000000C
	ds_read_b128 v[196:199], v12 offset:32                     // 000000004460: D9FE0020 C400000C
	ds_read_b128 v[200:203], v12 offset:64                     // 000000004468: D9FE0040 C800000C
	ds_read_b128 v[204:207], v12 offset:96                     // 000000004470: D9FE0060 CC00000C
	ds_read_b128 v[208:211], v12 offset:4352                   // 000000004478: D9FE1100 D000000C
	ds_read_b128 v[212:215], v12 offset:4384                   // 000000004480: D9FE1120 D400000C
	ds_read_b128 v[216:219], v12 offset:4416                   // 000000004488: D9FE1140 D800000C
	ds_read_b128 v[220:223], v12 offset:4448                   // 000000004490: D9FE1160 DC00000C
	s_waitcnt lgkmcnt(0)                                       // 000000004498: BF8CC07F
	s_barrier                                                  // 00000000449C: BF8A0000
	s_mov_b32 m0, s55                                          // 0000000044A0: BEFC0037
	v_mfma_f32_32x32x16_fp8_fp8 v[48:63], v[192:193], v[176:177], 0// 0000000044A4: D3F70030 020361C0
	buffer_load_dword v4, s[12:15], s57 offen lds              // 0000000044AC: E0511000 39030004
	s_add_u32 m0, 0x880, m0                                    // 0000000044B4: 807C7CFF 00000880
	v_mfma_f32_32x32x16_fp8_fp8 v[48:63], v[194:195], v[178:179], v[48:63]// 0000000044BC: D3F70030 04C365C2
	v_mfma_f32_32x32x16_fp8_fp8 v[48:63], v[196:197], v[180:181], v[48:63]// 0000000044C4: D3F70030 04C369C4
	buffer_load_dword v5, s[12:15], s57 offen lds              // 0000000044CC: E0511000 39030005
	s_add_u32 m0, 0x880, m0                                    // 0000000044D4: 807C7CFF 00000880
	v_mfma_f32_32x32x16_fp8_fp8 v[48:63], v[198:199], v[182:183], v[48:63]// 0000000044DC: D3F70030 04C36DC6
	v_mfma_f32_32x32x16_fp8_fp8 v[48:63], v[200:201], v[184:185], v[48:63]// 0000000044E4: D3F70030 04C371C8
	buffer_load_dword v6, s[12:15], s57 offen lds              // 0000000044EC: E0511000 39030006
	s_add_u32 m0, 0x880, m0                                    // 0000000044F4: 807C7CFF 00000880
	v_mfma_f32_32x32x16_fp8_fp8 v[48:63], v[202:203], v[186:187], v[48:63]// 0000000044FC: D3F70030 04C375CA
	v_mfma_f32_32x32x16_fp8_fp8 v[48:63], v[204:205], v[188:189], v[48:63]// 000000004504: D3F70030 04C379CC
	buffer_load_dword v7, s[12:15], s57 offen lds              // 00000000450C: E0511000 39030007
	s_add_u32 m0, 0x880, m0                                    // 000000004514: 807C7CFF 00000880
	v_mfma_f32_32x32x16_fp8_fp8 v[48:63], v[206:207], v[190:191], v[48:63]// 00000000451C: D3F70030 04C37DCE
	v_mfma_f32_32x32x16_fp8_fp8 v[64:79], v[208:209], v[176:177], 0// 000000004524: D3F70040 020361D0
	buffer_load_dword v224, v8, s[16:19], s32 offen            // 00000000452C: E0501000 2004E008
	v_mfma_f32_32x32x16_fp8_fp8 v[64:79], v[210:211], v[178:179], v[64:79]// 000000004534: D3F70040 050365D2
	v_mfma_f32_32x32x16_fp8_fp8 v[64:79], v[212:213], v[180:181], v[64:79]// 00000000453C: D3F70040 050369D4
	buffer_load_dword v225, v9, s[16:19], s32 offen            // 000000004544: E0501000 2004E109
	v_mfma_f32_32x32x16_fp8_fp8 v[64:79], v[214:215], v[182:183], v[64:79]// 00000000454C: D3F70040 05036DD6
	v_mfma_f32_32x32x16_fp8_fp8 v[64:79], v[216:217], v[184:185], v[64:79]// 000000004554: D3F70040 050371D8
	buffer_load_dword v226, v10, s[16:19], s32 offen           // 00000000455C: E0501000 2004E20A
	v_mfma_f32_32x32x16_fp8_fp8 v[64:79], v[218:219], v[186:187], v[64:79]// 000000004564: D3F70040 050375DA
	v_mfma_f32_32x32x16_fp8_fp8 v[64:79], v[220:221], v[188:189], v[64:79]// 00000000456C: D3F70040 050379DC
	buffer_load_dword v227, v11, s[16:19], s32 offen           // 000000004574: E0501000 2004E30B
	v_mfma_f32_32x32x16_fp8_fp8 v[64:79], v[222:223], v[190:191], v[64:79]// 00000000457C: D3F70040 05037DDE
	s_add_i32 s57, s64, s57                                    // 000000004584: 81393940
	s_add_i32 s32, s65, s32                                    // 000000004588: 81202041
	s_cmp_lt_i32 s72, s76                                      // 00000000458C: BF044C48
	s_cbranch_scc1 label_0328                                  // 000000004590: BF850083
	s_sub_i32 s34, s7, s72                                     // 000000004594: 81A24807
	v_sub_i32 v16, s34, v30                                    // 000000004598: D29D0010 00023C22
	v_cmp_lt_i32_e64 s[50:51], 0, v16                          // 0000000045A0: D0C10032 00022080
	v_cmp_lt_i32_e64 s[52:53], 1, v16                          // 0000000045A8: D0C10034 00022081
	v_cndmask_b32_e64 v48, v31, v48, s[50:51]                  // 0000000045B0: D1000030 00CA611F
	v_cndmask_b32_e64 v49, v31, v49, s[52:53]                  // 0000000045B8: D1000031 00D2631F
	v_cmp_lt_i32_e64 s[50:51], 2, v16                          // 0000000045C0: D0C10032 00022082
	v_cmp_lt_i32_e64 s[52:53], 3, v16                          // 0000000045C8: D0C10034 00022083
	v_cndmask_b32_e64 v50, v31, v50, s[50:51]                  // 0000000045D0: D1000032 00CA651F
	v_cndmask_b32_e64 v51, v31, v51, s[52:53]                  // 0000000045D8: D1000033 00D2671F
	v_cmp_lt_i32_e64 s[50:51], 8, v16                          // 0000000045E0: D0C10032 00022088
	v_cmp_lt_i32_e64 s[52:53], 9, v16                          // 0000000045E8: D0C10034 00022089
	v_cndmask_b32_e64 v52, v31, v52, s[50:51]                  // 0000000045F0: D1000034 00CA691F
	v_cndmask_b32_e64 v53, v31, v53, s[52:53]                  // 0000000045F8: D1000035 00D26B1F
	v_cmp_lt_i32_e64 s[50:51], 10, v16                         // 000000004600: D0C10032 0002208A
	v_cmp_lt_i32_e64 s[52:53], 11, v16                         // 000000004608: D0C10034 0002208B
	v_cndmask_b32_e64 v54, v31, v54, s[50:51]                  // 000000004610: D1000036 00CA6D1F
	v_cndmask_b32_e64 v55, v31, v55, s[52:53]                  // 000000004618: D1000037 00D26F1F
	v_cmp_lt_i32_e64 s[50:51], 16, v16                         // 000000004620: D0C10032 00022090
	v_cmp_lt_i32_e64 s[52:53], 17, v16                         // 000000004628: D0C10034 00022091
	v_cndmask_b32_e64 v56, v31, v56, s[50:51]                  // 000000004630: D1000038 00CA711F
	v_cndmask_b32_e64 v57, v31, v57, s[52:53]                  // 000000004638: D1000039 00D2731F
	v_cmp_lt_i32_e64 s[50:51], 18, v16                         // 000000004640: D0C10032 00022092
	v_cmp_lt_i32_e64 s[52:53], 19, v16                         // 000000004648: D0C10034 00022093
	v_cndmask_b32_e64 v58, v31, v58, s[50:51]                  // 000000004650: D100003A 00CA751F
	v_cndmask_b32_e64 v59, v31, v59, s[52:53]                  // 000000004658: D100003B 00D2771F
	v_cmp_lt_i32_e64 s[50:51], 24, v16                         // 000000004660: D0C10032 00022098
	v_cmp_lt_i32_e64 s[52:53], 25, v16                         // 000000004668: D0C10034 00022099
	v_cndmask_b32_e64 v60, v31, v60, s[50:51]                  // 000000004670: D100003C 00CA791F
	v_cndmask_b32_e64 v61, v31, v61, s[52:53]                  // 000000004678: D100003D 00D27B1F
	v_cmp_lt_i32_e64 s[50:51], 26, v16                         // 000000004680: D0C10032 0002209A
	v_cmp_lt_i32_e64 s[52:53], 27, v16                         // 000000004688: D0C10034 0002209B
	v_cndmask_b32_e64 v62, v31, v62, s[50:51]                  // 000000004690: D100003E 00CA7D1F
	v_cndmask_b32_e64 v63, v31, v63, s[52:53]                  // 000000004698: D100003F 00D27F1F
	v_cmp_lt_i32_e64 s[50:51], 32, v16                         // 0000000046A0: D0C10032 000220A0
	v_cmp_lt_i32_e64 s[52:53], 33, v16                         // 0000000046A8: D0C10034 000220A1
	v_cndmask_b32_e64 v64, v31, v64, s[50:51]                  // 0000000046B0: D1000040 00CA811F
	v_cndmask_b32_e64 v65, v31, v65, s[52:53]                  // 0000000046B8: D1000041 00D2831F
	v_cmp_lt_i32_e64 s[50:51], 34, v16                         // 0000000046C0: D0C10032 000220A2
	v_cmp_lt_i32_e64 s[52:53], 35, v16                         // 0000000046C8: D0C10034 000220A3
	v_cndmask_b32_e64 v66, v31, v66, s[50:51]                  // 0000000046D0: D1000042 00CA851F
	v_cndmask_b32_e64 v67, v31, v67, s[52:53]                  // 0000000046D8: D1000043 00D2871F
	v_cmp_lt_i32_e64 s[50:51], 40, v16                         // 0000000046E0: D0C10032 000220A8
	v_cmp_lt_i32_e64 s[52:53], 41, v16                         // 0000000046E8: D0C10034 000220A9
	v_cndmask_b32_e64 v68, v31, v68, s[50:51]                  // 0000000046F0: D1000044 00CA891F
	v_cndmask_b32_e64 v69, v31, v69, s[52:53]                  // 0000000046F8: D1000045 00D28B1F
	v_cmp_lt_i32_e64 s[50:51], 42, v16                         // 000000004700: D0C10032 000220AA
	v_cmp_lt_i32_e64 s[52:53], 43, v16                         // 000000004708: D0C10034 000220AB
	v_cndmask_b32_e64 v70, v31, v70, s[50:51]                  // 000000004710: D1000046 00CA8D1F
	v_cndmask_b32_e64 v71, v31, v71, s[52:53]                  // 000000004718: D1000047 00D28F1F
	v_cmp_lt_i32_e64 s[50:51], 48, v16                         // 000000004720: D0C10032 000220B0
	v_cmp_lt_i32_e64 s[52:53], 49, v16                         // 000000004728: D0C10034 000220B1
	v_cndmask_b32_e64 v72, v31, v72, s[50:51]                  // 000000004730: D1000048 00CA911F
	v_cndmask_b32_e64 v73, v31, v73, s[52:53]                  // 000000004738: D1000049 00D2931F
	v_cmp_lt_i32_e64 s[50:51], 50, v16                         // 000000004740: D0C10032 000220B2
	v_cmp_lt_i32_e64 s[52:53], 51, v16                         // 000000004748: D0C10034 000220B3
	v_cndmask_b32_e64 v74, v31, v74, s[50:51]                  // 000000004750: D100004A 00CA951F
	v_cndmask_b32_e64 v75, v31, v75, s[52:53]                  // 000000004758: D100004B 00D2971F
	v_cmp_lt_i32_e64 s[50:51], 56, v16                         // 000000004760: D0C10032 000220B8
	v_cmp_lt_i32_e64 s[52:53], 57, v16                         // 000000004768: D0C10034 000220B9
	v_cndmask_b32_e64 v76, v31, v76, s[50:51]                  // 000000004770: D100004C 00CA991F
	v_cndmask_b32_e64 v77, v31, v77, s[52:53]                  // 000000004778: D100004D 00D29B1F
	v_cmp_lt_i32_e64 s[50:51], 58, v16                         // 000000004780: D0C10032 000220BA
	v_cmp_lt_i32_e64 s[52:53], 59, v16                         // 000000004788: D0C10034 000220BB
	v_cndmask_b32_e64 v78, v31, v78, s[50:51]                  // 000000004790: D100004E 00CA9D1F
	v_cndmask_b32_e64 v79, v31, v79, s[52:53]                  // 000000004798: D100004F 00D29F1F

00000000000047a0 <label_0328>:
	v_max3_f32 v25, v48, v49, v28                              // 0000000047A0: D1D30019 04726330
	v_max3_f32 v25, v50, v51, v25                              // 0000000047A8: D1D30019 04666732
	v_max3_f32 v25, v52, v53, v25                              // 0000000047B0: D1D30019 04666B34
	v_max3_f32 v25, v54, v55, v25                              // 0000000047B8: D1D30019 04666F36
	v_max3_f32 v25, v56, v57, v25                              // 0000000047C0: D1D30019 04667338
	v_max3_f32 v25, v58, v59, v25                              // 0000000047C8: D1D30019 0466773A
	v_max3_f32 v25, v60, v61, v25                              // 0000000047D0: D1D30019 04667B3C
	v_max3_f32 v25, v62, v63, v25                              // 0000000047D8: D1D30019 04667F3E
	v_max3_f32 v25, v64, v65, v25                              // 0000000047E0: D1D30019 04668340
	v_max3_f32 v25, v66, v67, v25                              // 0000000047E8: D1D30019 04668742
	v_max3_f32 v25, v68, v69, v25                              // 0000000047F0: D1D30019 04668B44
	v_max3_f32 v25, v70, v71, v25                              // 0000000047F8: D1D30019 04668F46
	v_max3_f32 v25, v72, v73, v25                              // 000000004800: D1D30019 04669348
	v_max3_f32 v25, v74, v75, v25                              // 000000004808: D1D30019 0466974A
	v_max3_f32 v25, v76, v77, v25                              // 000000004810: D1D30019 04669B4C
	v_max3_f32 v25, v78, v79, v25                              // 000000004818: D1D30019 04669F4E
	ds_permute_b32 v24, v32, v25                               // 000000004820: D87C0000 18001920
	s_waitcnt lgkmcnt(0)                                       // 000000004828: BF8CC07F
	v_max_f32_e32 v25, v24, v25                                // 00000000482C: 16323318
	v_mov_b32_e32 v20, 0                                       // 000000004830: 7E280280
	v_mov_b32_e32 v28, v25                                     // 000000004834: 7E380319
	v_mul_f32_e32 v27, s74, v25                                // 000000004838: 0A36324A
	v_mul_f32_e32 v20, s74, v20                                // 00000000483C: 0A28284A
	v_exp_f32_e32 v20, v20                                     // 000000004840: 7E284114
	v_add_f32_e64 v36, 0, -v27                                 // 000000004844: D1010024 40023680
	v_mov_b32_e32 v37, v36                                     // 00000000484C: 7E4A0324
	v_pk_fma_f32 v[48:49], v[48:49], s[74:75], v[36:37]        // 000000004850: D3B04030 1C909530
	v_pk_fma_f32 v[50:51], v[50:51], s[74:75], v[36:37]        // 000000004858: D3B04032 1C909532
	v_pk_fma_f32 v[52:53], v[52:53], s[74:75], v[36:37]        // 000000004860: D3B04034 1C909534
	v_pk_fma_f32 v[54:55], v[54:55], s[74:75], v[36:37]        // 000000004868: D3B04036 1C909536
	v_pk_fma_f32 v[56:57], v[56:57], s[74:75], v[36:37]        // 000000004870: D3B04038 1C909538
	v_pk_fma_f32 v[58:59], v[58:59], s[74:75], v[36:37]        // 000000004878: D3B0403A 1C90953A
	v_pk_fma_f32 v[60:61], v[60:61], s[74:75], v[36:37]        // 000000004880: D3B0403C 1C90953C
	v_pk_fma_f32 v[62:63], v[62:63], s[74:75], v[36:37]        // 000000004888: D3B0403E 1C90953E
	v_pk_fma_f32 v[64:65], v[64:65], s[74:75], v[36:37]        // 000000004890: D3B04040 1C909540
	v_pk_fma_f32 v[66:67], v[66:67], s[74:75], v[36:37]        // 000000004898: D3B04042 1C909542
	v_pk_fma_f32 v[68:69], v[68:69], s[74:75], v[36:37]        // 0000000048A0: D3B04044 1C909544
	v_pk_fma_f32 v[70:71], v[70:71], s[74:75], v[36:37]        // 0000000048A8: D3B04046 1C909546
	v_pk_fma_f32 v[72:73], v[72:73], s[74:75], v[36:37]        // 0000000048B0: D3B04048 1C909548
	v_pk_fma_f32 v[74:75], v[74:75], s[74:75], v[36:37]        // 0000000048B8: D3B0404A 1C90954A
	v_pk_fma_f32 v[76:77], v[76:77], s[74:75], v[36:37]        // 0000000048C0: D3B0404C 1C90954C
	v_pk_fma_f32 v[78:79], v[78:79], s[74:75], v[36:37]        // 0000000048C8: D3B0404E 1C90954E
	s_addk_i32 s63, 0x40                                       // 0000000048D0: B73F0040
	s_add_i32 s72, s72, s73                                    // 0000000048D4: 81484948
	s_mov_b32 m0, s54                                          // 0000000048D8: BEFC0036
	buffer_load_dword v4, s[12:15], s57 offen lds              // 0000000048DC: E0511000 39030004
	s_add_u32 m0, 0x880, m0                                    // 0000000048E4: 807C7CFF 00000880
	buffer_load_dword v5, s[12:15], s57 offen lds              // 0000000048EC: E0511000 39030005
	s_add_u32 m0, 0x880, m0                                    // 0000000048F4: 807C7CFF 00000880
	buffer_load_dword v6, s[12:15], s57 offen lds              // 0000000048FC: E0511000 39030006
	s_add_u32 m0, 0x880, m0                                    // 000000004904: 807C7CFF 00000880
	buffer_load_dword v7, s[12:15], s57 offen lds              // 00000000490C: E0511000 39030007
	s_add_u32 m0, 0x880, m0                                    // 000000004914: 807C7CFF 00000880
	s_add_i32 s57, s64, s57                                    // 00000000491C: 81393940
	s_waitcnt vmcnt(8)                                         // 000000004920: BF8C0F78
	s_barrier                                                  // 000000004924: BF8A0000
	s_cmp_lt_i32 s63, s62                                      // 000000004928: BF043E3F
	s_cbranch_scc0 label_0CFD                                  // 00000000492C: BF840971
	s_cmp_lt_i32 s5, 4                                         // 000000004930: BF048405
	s_cbranch_scc0 label_0858                                  // 000000004934: BF8404CA
	buffer_load_dword v228, v8, s[16:19], s32 offen            // 000000004938: E0501000 2004E408
	buffer_load_dword v229, v9, s[16:19], s32 offen            // 000000004940: E0501000 2004E509
	buffer_load_dword v230, v10, s[16:19], s32 offen           // 000000004948: E0501000 2004E60A
	buffer_load_dword v231, v11, s[16:19], s32 offen           // 000000004950: E0501000 2004E70B
	s_add_i32 s32, s65, s32                                    // 000000004958: 81202041
	ds_read_b128 v[192:195], v12 offset:8704                   // 00000000495C: D9FE2200 C000000C
	ds_read_b128 v[196:199], v12 offset:8736                   // 000000004964: D9FE2220 C400000C
	ds_read_b128 v[200:203], v12 offset:8768                   // 00000000496C: D9FE2240 C800000C
	ds_read_b128 v[204:207], v12 offset:8800                   // 000000004974: D9FE2260 CC00000C
	ds_read_b128 v[208:211], v12 offset:13056                  // 00000000497C: D9FE3300 D000000C
	ds_read_b128 v[212:215], v12 offset:13088                  // 000000004984: D9FE3320 D400000C
	ds_read_b128 v[216:219], v12 offset:13120                  // 00000000498C: D9FE3340 D800000C
	ds_read_b128 v[220:223], v12 offset:13152                  // 000000004994: D9FE3360 DC00000C
	s_setprio 0                                                // 00000000499C: BF8F0000
	s_barrier                                                  // 0000000049A0: BF8A0000

00000000000049a4 <label_03A9>:
	s_waitcnt lgkmcnt(0)                                       // 0000000049A4: BF8CC07F
	s_nop 0                                                    // 0000000049A8: BF800000
	v_pk_add_f32 v[16:17], v[112:113], v[112:113]              // 0000000049AC: D3B24010 1802E170
	v_mfma_f32_32x32x16_fp8_fp8 v[80:95], v[192:193], v[176:177], 0// 0000000049B4: D3F70050 020361C0
	v_mfma_f32_32x32x16_fp8_fp8 v[80:95], v[194:195], v[178:179], v[80:95]// 0000000049BC: D3F70050 054365C2
	v_mfma_f32_32x32x16_fp8_fp8 v[80:95], v[196:197], v[180:181], v[80:95]// 0000000049C4: D3F70050 054369C4
	v_mfma_f32_32x32x16_fp8_fp8 v[80:95], v[198:199], v[182:183], v[80:95]// 0000000049CC: D3F70050 05436DC6
	v_mfma_f32_32x32x16_fp8_fp8 v[80:95], v[200:201], v[184:185], v[80:95]// 0000000049D4: D3F70050 054371C8
	v_mfma_f32_32x32x16_fp8_fp8 v[80:95], v[202:203], v[186:187], v[80:95]// 0000000049DC: D3F70050 054375CA
	v_mfma_f32_32x32x16_fp8_fp8 v[80:95], v[204:205], v[188:189], v[80:95]// 0000000049E4: D3F70050 054379CC
	v_mfma_f32_32x32x16_fp8_fp8 v[80:95], v[206:207], v[190:191], v[80:95]// 0000000049EC: D3F70050 05437DCE
	v_mfma_f32_32x32x16_fp8_fp8 v[96:111], v[208:209], v[176:177], 0// 0000000049F4: D3F70060 020361D0
	v_mfma_f32_32x32x16_fp8_fp8 v[96:111], v[210:211], v[178:179], v[96:111]// 0000000049FC: D3F70060 058365D2
	v_mfma_f32_32x32x16_fp8_fp8 v[96:111], v[212:213], v[180:181], v[96:111]// 000000004A04: D3F70060 058369D4
	v_mfma_f32_32x32x16_fp8_fp8 v[96:111], v[214:215], v[182:183], v[96:111]// 000000004A0C: D3F70060 05836DD6
	v_mfma_f32_32x32x16_fp8_fp8 v[96:111], v[216:217], v[184:185], v[96:111]// 000000004A14: D3F70060 058371D8
	v_mfma_f32_32x32x16_fp8_fp8 v[96:111], v[218:219], v[186:187], v[96:111]// 000000004A1C: D3F70060 058375DA
	v_mfma_f32_32x32x16_fp8_fp8 v[96:111], v[220:221], v[188:189], v[96:111]// 000000004A24: D3F70060 058379DC
	v_exp_f32_e32 v48, v48                                     // 000000004A2C: 7E604130
	v_exp_f32_e32 v49, v49                                     // 000000004A30: 7E624131
	v_exp_f32_e32 v50, v50                                     // 000000004A34: 7E644132
	v_exp_f32_e32 v51, v51                                     // 000000004A38: 7E664133
	v_exp_f32_e32 v52, v52                                     // 000000004A3C: 7E684134
	v_exp_f32_e32 v53, v53                                     // 000000004A40: 7E6A4135
	v_exp_f32_e32 v54, v54                                     // 000000004A44: 7E6C4136
	v_exp_f32_e32 v55, v55                                     // 000000004A48: 7E6E4137
	v_exp_f32_e32 v56, v56                                     // 000000004A4C: 7E704138
	v_exp_f32_e32 v57, v57                                     // 000000004A50: 7E724139
	v_exp_f32_e32 v58, v58                                     // 000000004A54: 7E74413A
	v_exp_f32_e32 v59, v59                                     // 000000004A58: 7E76413B
	v_exp_f32_e32 v60, v60                                     // 000000004A5C: 7E78413C
	v_exp_f32_e32 v61, v61                                     // 000000004A60: 7E7A413D
	v_exp_f32_e32 v62, v62                                     // 000000004A64: 7E7C413E
	v_exp_f32_e32 v63, v63                                     // 000000004A68: 7E7E413F
	v_exp_f32_e32 v64, v64                                     // 000000004A6C: 7E804140
	v_exp_f32_e32 v65, v65                                     // 000000004A70: 7E824141
	v_exp_f32_e32 v66, v66                                     // 000000004A74: 7E844142
	v_exp_f32_e32 v67, v67                                     // 000000004A78: 7E864143
	v_exp_f32_e32 v68, v68                                     // 000000004A7C: 7E884144
	v_exp_f32_e32 v69, v69                                     // 000000004A80: 7E8A4145
	v_exp_f32_e32 v70, v70                                     // 000000004A84: 7E8C4146
	v_exp_f32_e32 v71, v71                                     // 000000004A88: 7E8E4147
	v_exp_f32_e32 v72, v72                                     // 000000004A8C: 7E904148
	v_exp_f32_e32 v73, v73                                     // 000000004A90: 7E924149
	v_exp_f32_e32 v74, v74                                     // 000000004A94: 7E94414A
	v_exp_f32_e32 v75, v75                                     // 000000004A98: 7E96414B
	v_exp_f32_e32 v76, v76                                     // 000000004A9C: 7E98414C
	v_exp_f32_e32 v77, v77                                     // 000000004AA0: 7E9A414D
	v_exp_f32_e32 v78, v78                                     // 000000004AA4: 7E9C414E
	v_exp_f32_e32 v79, v79                                     // 000000004AA8: 7E9E414F
	v_mul_f32_e32 v22, v20, v22                                // 000000004AAC: 0A2C2D14
	s_nop 0                                                    // 000000004AB0: BF800000
	v_pk_add_f32 v[38:39], v[48:49], v[50:51]                  // 000000004AB4: D3B24026 18026530
	v_pk_add_f32 v[38:39], v[52:53], v[38:39]                  // 000000004ABC: D3B24026 18024D34
	v_pk_add_f32 v[38:39], v[54:55], v[38:39]                  // 000000004AC4: D3B24026 18024D36
	v_pk_add_f32 v[38:39], v[56:57], v[38:39]                  // 000000004ACC: D3B24026 18024D38
	v_pk_add_f32 v[38:39], v[58:59], v[38:39]                  // 000000004AD4: D3B24026 18024D3A
	v_pk_add_f32 v[38:39], v[60:61], v[38:39]                  // 000000004ADC: D3B24026 18024D3C
	v_pk_add_f32 v[38:39], v[62:63], v[38:39]                  // 000000004AE4: D3B24026 18024D3E
	v_pk_add_f32 v[38:39], v[64:65], v[38:39]                  // 000000004AEC: D3B24026 18024D40
	v_pk_add_f32 v[38:39], v[66:67], v[38:39]                  // 000000004AF4: D3B24026 18024D42
	v_pk_add_f32 v[38:39], v[68:69], v[38:39]                  // 000000004AFC: D3B24026 18024D44
	v_pk_add_f32 v[38:39], v[70:71], v[38:39]                  // 000000004B04: D3B24026 18024D46
	v_pk_add_f32 v[38:39], v[72:73], v[38:39]                  // 000000004B0C: D3B24026 18024D48
	v_pk_add_f32 v[38:39], v[74:75], v[38:39]                  // 000000004B14: D3B24026 18024D4A
	v_pk_add_f32 v[38:39], v[76:77], v[38:39]                  // 000000004B1C: D3B24026 18024D4C
	v_pk_add_f32 v[38:39], v[78:79], v[38:39]                  // 000000004B24: D3B24026 18024D4E
	v_add_f32_e32 v38, v38, v39                                // 000000004B2C: 024C4F26
	v_add_f32_e32 v22, v38, v22                                // 000000004B30: 022C2D26
	v_cvt_pk_fp8_f32 v48, v48, v49                             // 000000004B34: D2A20030 00026330
	v_cvt_pk_fp8_f32 v48, v50, v51 op_sel:[0,0,1]              // 000000004B3C: D2A24030 00026732
	v_cvt_pk_fp8_f32 v49, v52, v53                             // 000000004B44: D2A20031 00026B34
	v_cvt_pk_fp8_f32 v49, v54, v55 op_sel:[0,0,1]              // 000000004B4C: D2A24031 00026F36
	v_cvt_pk_fp8_f32 v50, v56, v57                             // 000000004B54: D2A20032 00027338
	v_cvt_pk_fp8_f32 v50, v58, v59 op_sel:[0,0,1]              // 000000004B5C: D2A24032 0002773A
	v_cvt_pk_fp8_f32 v51, v60, v61                             // 000000004B64: D2A20033 00027B3C
	v_cvt_pk_fp8_f32 v51, v62, v63 op_sel:[0,0,1]              // 000000004B6C: D2A24033 00027F3E
	v_cvt_pk_fp8_f32 v52, v64, v65                             // 000000004B74: D2A20034 00028340
	v_cvt_pk_fp8_f32 v52, v66, v67 op_sel:[0,0,1]              // 000000004B7C: D2A24034 00028742
	v_cvt_pk_fp8_f32 v53, v68, v69                             // 000000004B84: D2A20035 00028B44
	v_cvt_pk_fp8_f32 v53, v70, v71 op_sel:[0,0,1]              // 000000004B8C: D2A24035 00028F46
	v_cvt_pk_fp8_f32 v54, v72, v73                             // 000000004B94: D2A20036 00029348
	v_cvt_pk_fp8_f32 v54, v74, v75 op_sel:[0,0,1]              // 000000004B9C: D2A24036 0002974A
	v_cvt_pk_fp8_f32 v55, v76, v77                             // 000000004BA4: D2A20037 00029B4C
	v_cvt_pk_fp8_f32 v55, v78, v79 op_sel:[0,0,1]              // 000000004BAC: D2A24037 00029F4E
	v_mfma_f32_32x32x16_fp8_fp8 v[96:111], v[222:223], v[190:191], v[96:111]// 000000004BB4: D3F70060 05837DDE
	s_waitcnt vmcnt(8)                                         // 000000004BBC: BF8C0F78
	s_barrier                                                  // 000000004BC0: BF8A0000
	v_perm_b32 v16, v225, v224, s69                            // 000000004BC4: D1ED0010 0117C1E1
	v_perm_b32 v17, v225, v224, s70                            // 000000004BCC: D1ED0011 011BC1E1
	v_perm_b32 v18, v227, v226, s69                            // 000000004BD4: D1ED0012 0117C5E3
	v_perm_b32 v19, v227, v226, s70                            // 000000004BDC: D1ED0013 011BC5E3
	v_perm_b32 v232, v18, v16, s68                             // 000000004BE4: D1ED00E8 01122112
	v_perm_b32 v233, v18, v16, s67                             // 000000004BEC: D1ED00E9 010E2112
	v_perm_b32 v234, v19, v17, s68                             // 000000004BF4: D1ED00EA 01122313
	v_perm_b32 v235, v19, v17, s67                             // 000000004BFC: D1ED00EB 010E2313
	s_barrier                                                  // 000000004C04: BF8A0000
	ds_write_b32 v14, v232 offset:17408                        // 000000004C08: D81A4400 0000E80E
	ds_write_b32 v14, v233 offset:19488                        // 000000004C10: D81A4C20 0000E90E
	ds_write_b32 v14, v234 offset:21568                        // 000000004C18: D81A5440 0000EA0E
	ds_write_b32 v14, v235 offset:23648                        // 000000004C20: D81A5C60 0000EB0E
	s_waitcnt lgkmcnt(0)                                       // 000000004C28: BF8CC07F
	s_barrier                                                  // 000000004C2C: BF8A0000
	s_mov_b32 m0, s55                                          // 000000004C30: BEFC0037
	buffer_load_dword v4, s[12:15], s57 offen lds              // 000000004C34: E0511000 39030004
	s_add_u32 m0, 0x880, m0                                    // 000000004C3C: 807C7CFF 00000880
	buffer_load_dword v5, s[12:15], s57 offen lds              // 000000004C44: E0511000 39030005
	s_add_u32 m0, 0x880, m0                                    // 000000004C4C: 807C7CFF 00000880
	buffer_load_dword v6, s[12:15], s57 offen lds              // 000000004C54: E0511000 39030006
	s_add_u32 m0, 0x880, m0                                    // 000000004C5C: 807C7CFF 00000880
	buffer_load_dword v7, s[12:15], s57 offen lds              // 000000004C64: E0511000 39030007
	s_add_u32 m0, 0x880, m0                                    // 000000004C6C: 807C7CFF 00000880
	s_add_i32 s57, s64, s57                                    // 000000004C74: 81393940
	s_add_u32 s34, 0x100, s63                                  // 000000004C78: 80223FFF 00000100
	s_nop 0                                                    // 000000004C80: BF800000
	s_cmp_lt_u32 s34, s62                                      // 000000004C84: BF0A3E22
	s_cselect_b32 s64, s64, 0                                  // 000000004C88: 85408040
	ds_read_b32 v192, v13 offset:17408                         // 000000004C8C: D86C4400 C000000D
	ds_read_b32 v193, v13 offset:17664                         // 000000004C94: D86C4500 C100000D
	ds_read_b32 v194, v13 offset:17920                         // 000000004C9C: D86C4600 C200000D
	ds_read_b32 v195, v13 offset:18176                         // 000000004CA4: D86C4700 C300000D
	ds_read_b32 v196, v13 offset:18432                         // 000000004CAC: D86C4800 C400000D
	ds_read_b32 v197, v13 offset:18688                         // 000000004CB4: D86C4900 C500000D
	ds_read_b32 v198, v13 offset:18944                         // 000000004CBC: D86C4A00 C600000D
	ds_read_b32 v199, v13 offset:19200                         // 000000004CC4: D86C4B00 C700000D
	ds_read_b32 v200, v13 offset:17440                         // 000000004CCC: D86C4420 C800000D
	ds_read_b32 v201, v13 offset:17696                         // 000000004CD4: D86C4520 C900000D
	ds_read_b32 v202, v13 offset:17952                         // 000000004CDC: D86C4620 CA00000D
	ds_read_b32 v203, v13 offset:18208                         // 000000004CE4: D86C4720 CB00000D
	ds_read_b32 v204, v13 offset:18464                         // 000000004CEC: D86C4820 CC00000D
	ds_read_b32 v205, v13 offset:18720                         // 000000004CF4: D86C4920 CD00000D
	ds_read_b32 v206, v13 offset:18976                         // 000000004CFC: D86C4A20 CE00000D
	ds_read_b32 v207, v13 offset:19232                         // 000000004D04: D86C4B20 CF00000D
	ds_read_b32 v208, v13 offset:17472                         // 000000004D0C: D86C4440 D000000D
	ds_read_b32 v209, v13 offset:17728                         // 000000004D14: D86C4540 D100000D
	ds_read_b32 v210, v13 offset:17984                         // 000000004D1C: D86C4640 D200000D
	ds_read_b32 v211, v13 offset:18240                         // 000000004D24: D86C4740 D300000D
	ds_read_b32 v212, v13 offset:18496                         // 000000004D2C: D86C4840 D400000D
	ds_read_b32 v213, v13 offset:18752                         // 000000004D34: D86C4940 D500000D
	ds_read_b32 v214, v13 offset:19008                         // 000000004D3C: D86C4A40 D600000D
	ds_read_b32 v215, v13 offset:19264                         // 000000004D44: D86C4B40 D700000D
	ds_read_b32 v216, v13 offset:17504                         // 000000004D4C: D86C4460 D800000D
	ds_read_b32 v217, v13 offset:17760                         // 000000004D54: D86C4560 D900000D
	ds_read_b32 v218, v13 offset:18016                         // 000000004D5C: D86C4660 DA00000D
	ds_read_b32 v219, v13 offset:18272                         // 000000004D64: D86C4760 DB00000D
	ds_read_b32 v220, v13 offset:18528                         // 000000004D6C: D86C4860 DC00000D
	ds_read_b32 v221, v13 offset:18784                         // 000000004D74: D86C4960 DD00000D
	ds_read_b32 v222, v13 offset:19040                         // 000000004D7C: D86C4A60 DE00000D
	ds_read_b32 v223, v13 offset:19296                         // 000000004D84: D86C4B60 DF00000D
	s_cmp_lt_i32 s72, s76                                      // 000000004D8C: BF044C48
	s_cbranch_scc1 label_0528                                  // 000000004D90: BF850083
	s_sub_i32 s34, s7, s72                                     // 000000004D94: 81A24807
	v_sub_i32 v16, s34, v30                                    // 000000004D98: D29D0010 00023C22
	v_cmp_lt_i32_e64 s[50:51], 0, v16                          // 000000004DA0: D0C10032 00022080
	v_cmp_lt_i32_e64 s[52:53], 1, v16                          // 000000004DA8: D0C10034 00022081
	v_cndmask_b32_e64 v80, v31, v80, s[50:51]                  // 000000004DB0: D1000050 00CAA11F
	v_cndmask_b32_e64 v81, v31, v81, s[52:53]                  // 000000004DB8: D1000051 00D2A31F
	v_cmp_lt_i32_e64 s[50:51], 2, v16                          // 000000004DC0: D0C10032 00022082
	v_cmp_lt_i32_e64 s[52:53], 3, v16                          // 000000004DC8: D0C10034 00022083
	v_cndmask_b32_e64 v82, v31, v82, s[50:51]                  // 000000004DD0: D1000052 00CAA51F
	v_cndmask_b32_e64 v83, v31, v83, s[52:53]                  // 000000004DD8: D1000053 00D2A71F
	v_cmp_lt_i32_e64 s[50:51], 8, v16                          // 000000004DE0: D0C10032 00022088
	v_cmp_lt_i32_e64 s[52:53], 9, v16                          // 000000004DE8: D0C10034 00022089
	v_cndmask_b32_e64 v84, v31, v84, s[50:51]                  // 000000004DF0: D1000054 00CAA91F
	v_cndmask_b32_e64 v85, v31, v85, s[52:53]                  // 000000004DF8: D1000055 00D2AB1F
	v_cmp_lt_i32_e64 s[50:51], 10, v16                         // 000000004E00: D0C10032 0002208A
	v_cmp_lt_i32_e64 s[52:53], 11, v16                         // 000000004E08: D0C10034 0002208B
	v_cndmask_b32_e64 v86, v31, v86, s[50:51]                  // 000000004E10: D1000056 00CAAD1F
	v_cndmask_b32_e64 v87, v31, v87, s[52:53]                  // 000000004E18: D1000057 00D2AF1F
	v_cmp_lt_i32_e64 s[50:51], 16, v16                         // 000000004E20: D0C10032 00022090
	v_cmp_lt_i32_e64 s[52:53], 17, v16                         // 000000004E28: D0C10034 00022091
	v_cndmask_b32_e64 v88, v31, v88, s[50:51]                  // 000000004E30: D1000058 00CAB11F
	v_cndmask_b32_e64 v89, v31, v89, s[52:53]                  // 000000004E38: D1000059 00D2B31F
	v_cmp_lt_i32_e64 s[50:51], 18, v16                         // 000000004E40: D0C10032 00022092
	v_cmp_lt_i32_e64 s[52:53], 19, v16                         // 000000004E48: D0C10034 00022093
	v_cndmask_b32_e64 v90, v31, v90, s[50:51]                  // 000000004E50: D100005A 00CAB51F
	v_cndmask_b32_e64 v91, v31, v91, s[52:53]                  // 000000004E58: D100005B 00D2B71F
	v_cmp_lt_i32_e64 s[50:51], 24, v16                         // 000000004E60: D0C10032 00022098
	v_cmp_lt_i32_e64 s[52:53], 25, v16                         // 000000004E68: D0C10034 00022099
	v_cndmask_b32_e64 v92, v31, v92, s[50:51]                  // 000000004E70: D100005C 00CAB91F
	v_cndmask_b32_e64 v93, v31, v93, s[52:53]                  // 000000004E78: D100005D 00D2BB1F
	v_cmp_lt_i32_e64 s[50:51], 26, v16                         // 000000004E80: D0C10032 0002209A
	v_cmp_lt_i32_e64 s[52:53], 27, v16                         // 000000004E88: D0C10034 0002209B
	v_cndmask_b32_e64 v94, v31, v94, s[50:51]                  // 000000004E90: D100005E 00CABD1F
	v_cndmask_b32_e64 v95, v31, v95, s[52:53]                  // 000000004E98: D100005F 00D2BF1F
	v_cmp_lt_i32_e64 s[50:51], 32, v16                         // 000000004EA0: D0C10032 000220A0
	v_cmp_lt_i32_e64 s[52:53], 33, v16                         // 000000004EA8: D0C10034 000220A1
	v_cndmask_b32_e64 v96, v31, v96, s[50:51]                  // 000000004EB0: D1000060 00CAC11F
	v_cndmask_b32_e64 v97, v31, v97, s[52:53]                  // 000000004EB8: D1000061 00D2C31F
	v_cmp_lt_i32_e64 s[50:51], 34, v16                         // 000000004EC0: D0C10032 000220A2
	v_cmp_lt_i32_e64 s[52:53], 35, v16                         // 000000004EC8: D0C10034 000220A3
	v_cndmask_b32_e64 v98, v31, v98, s[50:51]                  // 000000004ED0: D1000062 00CAC51F
	v_cndmask_b32_e64 v99, v31, v99, s[52:53]                  // 000000004ED8: D1000063 00D2C71F
	v_cmp_lt_i32_e64 s[50:51], 40, v16                         // 000000004EE0: D0C10032 000220A8
	v_cmp_lt_i32_e64 s[52:53], 41, v16                         // 000000004EE8: D0C10034 000220A9
	v_cndmask_b32_e64 v100, v31, v100, s[50:51]                // 000000004EF0: D1000064 00CAC91F
	v_cndmask_b32_e64 v101, v31, v101, s[52:53]                // 000000004EF8: D1000065 00D2CB1F
	v_cmp_lt_i32_e64 s[50:51], 42, v16                         // 000000004F00: D0C10032 000220AA
	v_cmp_lt_i32_e64 s[52:53], 43, v16                         // 000000004F08: D0C10034 000220AB
	v_cndmask_b32_e64 v102, v31, v102, s[50:51]                // 000000004F10: D1000066 00CACD1F
	v_cndmask_b32_e64 v103, v31, v103, s[52:53]                // 000000004F18: D1000067 00D2CF1F
	v_cmp_lt_i32_e64 s[50:51], 48, v16                         // 000000004F20: D0C10032 000220B0
	v_cmp_lt_i32_e64 s[52:53], 49, v16                         // 000000004F28: D0C10034 000220B1
	v_cndmask_b32_e64 v104, v31, v104, s[50:51]                // 000000004F30: D1000068 00CAD11F
	v_cndmask_b32_e64 v105, v31, v105, s[52:53]                // 000000004F38: D1000069 00D2D31F
	v_cmp_lt_i32_e64 s[50:51], 50, v16                         // 000000004F40: D0C10032 000220B2
	v_cmp_lt_i32_e64 s[52:53], 51, v16                         // 000000004F48: D0C10034 000220B3
	v_cndmask_b32_e64 v106, v31, v106, s[50:51]                // 000000004F50: D100006A 00CAD51F
	v_cndmask_b32_e64 v107, v31, v107, s[52:53]                // 000000004F58: D100006B 00D2D71F
	v_cmp_lt_i32_e64 s[50:51], 56, v16                         // 000000004F60: D0C10032 000220B8
	v_cmp_lt_i32_e64 s[52:53], 57, v16                         // 000000004F68: D0C10034 000220B9
	v_cndmask_b32_e64 v108, v31, v108, s[50:51]                // 000000004F70: D100006C 00CAD91F
	v_cndmask_b32_e64 v109, v31, v109, s[52:53]                // 000000004F78: D100006D 00D2DB1F
	v_cmp_lt_i32_e64 s[50:51], 58, v16                         // 000000004F80: D0C10032 000220BA
	v_cmp_lt_i32_e64 s[52:53], 59, v16                         // 000000004F88: D0C10034 000220BB
	v_cndmask_b32_e64 v110, v31, v110, s[50:51]                // 000000004F90: D100006E 00CADD1F
	v_cndmask_b32_e64 v111, v31, v111, s[52:53]                // 000000004F98: D100006F 00D2DF1F

0000000000004fa0 <label_0528>:
	s_waitcnt lgkmcnt(0)                                       // 000000004FA0: BF8CC07F
	s_barrier                                                  // 000000004FA4: BF8A0000
	v_max3_f32 v25, v80, v81, v28                              // 000000004FA8: D1D30019 0472A350
	v_max3_f32 v25, v82, v83, v25                              // 000000004FB0: D1D30019 0466A752
	v_max3_f32 v25, v84, v85, v25                              // 000000004FB8: D1D30019 0466AB54
	v_max3_f32 v25, v86, v87, v25                              // 000000004FC0: D1D30019 0466AF56
	v_max3_f32 v25, v88, v89, v25                              // 000000004FC8: D1D30019 0466B358
	v_max3_f32 v25, v90, v91, v25                              // 000000004FD0: D1D30019 0466B75A
	v_max3_f32 v25, v92, v93, v25                              // 000000004FD8: D1D30019 0466BB5C
	v_max3_f32 v25, v94, v95, v25                              // 000000004FE0: D1D30019 0466BF5E
	v_max3_f32 v25, v96, v97, v25                              // 000000004FE8: D1D30019 0466C360
	v_max3_f32 v25, v98, v99, v25                              // 000000004FF0: D1D30019 0466C762
	v_max3_f32 v25, v100, v101, v25                            // 000000004FF8: D1D30019 0466CB64
	v_max3_f32 v25, v102, v103, v25                            // 000000005000: D1D30019 0466CF66
	v_max3_f32 v25, v104, v105, v25                            // 000000005008: D1D30019 0466D368
	v_max3_f32 v25, v106, v107, v25                            // 000000005010: D1D30019 0466D76A
	v_max3_f32 v25, v108, v109, v25                            // 000000005018: D1D30019 0466DB6C
	v_max3_f32 v25, v110, v111, v25                            // 000000005020: D1D30019 0466DF6E
	v_mfma_f32_32x32x16_fp8_fp8 v[112:127], v[192:193], v[48:49], v[112:127]// 000000005028: D3F70070 05C261C0
	ds_permute_b32 v24, v32, v25                               // 000000005030: D87C0000 18001920
	v_mfma_f32_32x32x16_fp8_fp8 v[112:127], v[194:195], v[50:51], v[112:127]// 000000005038: D3F70070 05C265C2
	v_mfma_f32_32x32x16_fp8_fp8 v[112:127], v[196:197], v[52:53], v[112:127]// 000000005040: D3F70070 05C269C4
	v_mfma_f32_32x32x16_fp8_fp8 v[112:127], v[198:199], v[54:55], v[112:127]// 000000005048: D3F70070 05C26DC6
	v_mfma_f32_32x32x16_fp8_fp8 v[128:143], v[200:201], v[48:49], v[128:143]// 000000005050: D3F70080 060261C8
	v_mfma_f32_32x32x16_fp8_fp8 v[128:143], v[202:203], v[50:51], v[128:143]// 000000005058: D3F70080 060265CA
	v_mfma_f32_32x32x16_fp8_fp8 v[128:143], v[204:205], v[52:53], v[128:143]// 000000005060: D3F70080 060269CC
	v_mfma_f32_32x32x16_fp8_fp8 v[128:143], v[206:207], v[54:55], v[128:143]// 000000005068: D3F70080 06026DCE
	v_mfma_f32_32x32x16_fp8_fp8 v[144:159], v[208:209], v[48:49], v[144:159]// 000000005070: D3F70090 064261D0
	s_waitcnt lgkmcnt(0)                                       // 000000005078: BF8CC07F
	v_mfma_f32_32x32x16_fp8_fp8 v[144:159], v[210:211], v[50:51], v[144:159]// 00000000507C: D3F70090 064265D2
	v_mfma_f32_32x32x16_fp8_fp8 v[144:159], v[212:213], v[52:53], v[144:159]// 000000005084: D3F70090 064269D4
	v_mfma_f32_32x32x16_fp8_fp8 v[144:159], v[214:215], v[54:55], v[144:159]// 00000000508C: D3F70090 06426DD6
	v_mfma_f32_32x32x16_fp8_fp8 v[160:175], v[216:217], v[48:49], v[160:175]// 000000005094: D3F700A0 068261D8
	v_mfma_f32_32x32x16_fp8_fp8 v[160:175], v[218:219], v[50:51], v[160:175]// 00000000509C: D3F700A0 068265DA
	v_mfma_f32_32x32x16_fp8_fp8 v[160:175], v[220:221], v[52:53], v[160:175]// 0000000050A4: D3F700A0 068269DC
	v_max_f32_e32 v25, v24, v25                                // 0000000050AC: 16323318
	v_sub_f32_e32 v20, v28, v25                                // 0000000050B0: 0428331C
	v_mov_b32_e32 v28, v25                                     // 0000000050B4: 7E380319
	v_mul_f32_e32 v27, s74, v25                                // 0000000050B8: 0A36324A
	v_mul_f32_e32 v20, s74, v20                                // 0000000050BC: 0A28284A
	v_exp_f32_e32 v20, v20                                     // 0000000050C0: 7E284114
	v_add_f32_e64 v36, 0, -v27                                 // 0000000050C4: D1010024 40023680
	v_mov_b32_e32 v37, v36                                     // 0000000050CC: 7E4A0324
	v_pk_fma_f32 v[80:81], v[80:81], s[74:75], v[36:37]        // 0000000050D0: D3B04050 1C909550
	v_pk_fma_f32 v[82:83], v[82:83], s[74:75], v[36:37]        // 0000000050D8: D3B04052 1C909552
	v_pk_fma_f32 v[84:85], v[84:85], s[74:75], v[36:37]        // 0000000050E0: D3B04054 1C909554
	v_pk_fma_f32 v[86:87], v[86:87], s[74:75], v[36:37]        // 0000000050E8: D3B04056 1C909556
	v_pk_fma_f32 v[88:89], v[88:89], s[74:75], v[36:37]        // 0000000050F0: D3B04058 1C909558
	v_pk_fma_f32 v[90:91], v[90:91], s[74:75], v[36:37]        // 0000000050F8: D3B0405A 1C90955A
	v_pk_fma_f32 v[92:93], v[92:93], s[74:75], v[36:37]        // 000000005100: D3B0405C 1C90955C
	v_pk_fma_f32 v[94:95], v[94:95], s[74:75], v[36:37]        // 000000005108: D3B0405E 1C90955E
	v_pk_fma_f32 v[96:97], v[96:97], s[74:75], v[36:37]        // 000000005110: D3B04060 1C909560
	v_pk_fma_f32 v[98:99], v[98:99], s[74:75], v[36:37]        // 000000005118: D3B04062 1C909562
	v_pk_fma_f32 v[100:101], v[100:101], s[74:75], v[36:37]    // 000000005120: D3B04064 1C909564
	v_pk_fma_f32 v[102:103], v[102:103], s[74:75], v[36:37]    // 000000005128: D3B04066 1C909566
	v_pk_fma_f32 v[104:105], v[104:105], s[74:75], v[36:37]    // 000000005130: D3B04068 1C909568
	v_pk_fma_f32 v[106:107], v[106:107], s[74:75], v[36:37]    // 000000005138: D3B0406A 1C90956A
	v_pk_fma_f32 v[108:109], v[108:109], s[74:75], v[36:37]    // 000000005140: D3B0406C 1C90956C
	v_pk_fma_f32 v[110:111], v[110:111], s[74:75], v[36:37]    // 000000005148: D3B0406E 1C90956E
	v_mfma_f32_32x32x16_fp8_fp8 v[160:175], v[222:223], v[54:55], v[160:175]// 000000005150: D3F700A0 06826DDE
	s_setprio 1                                                // 000000005158: BF8F0001
	s_waitcnt vmcnt(8)                                         // 00000000515C: BF8C0F78
	s_barrier                                                  // 000000005160: BF8A0000
	v_mov_b32_e32 v21, v20                                     // 000000005164: 7E2A0314
	v_mul_f32_e32 v112, v20, v112                              // 000000005168: 0AE0E114
	v_mul_f32_e32 v113, v20, v113                              // 00000000516C: 0AE2E314
	v_pk_mul_f32 v[114:115], v[20:21], v[114:115]              // 000000005170: D3B14072 1802E514
	v_pk_mul_f32 v[116:117], v[20:21], v[116:117]              // 000000005178: D3B14074 1802E914
	v_pk_mul_f32 v[118:119], v[20:21], v[118:119]              // 000000005180: D3B14076 1802ED14
	v_pk_mul_f32 v[120:121], v[20:21], v[120:121]              // 000000005188: D3B14078 1802F114
	v_pk_mul_f32 v[122:123], v[20:21], v[122:123]              // 000000005190: D3B1407A 1802F514
	v_pk_mul_f32 v[124:125], v[20:21], v[124:125]              // 000000005198: D3B1407C 1802F914
	v_pk_mul_f32 v[126:127], v[20:21], v[126:127]              // 0000000051A0: D3B1407E 1802FD14
	v_pk_mul_f32 v[128:129], v[20:21], v[128:129]              // 0000000051A8: D3B14080 18030114
	v_pk_mul_f32 v[130:131], v[20:21], v[130:131]              // 0000000051B0: D3B14082 18030514
	v_pk_mul_f32 v[132:133], v[20:21], v[132:133]              // 0000000051B8: D3B14084 18030914
	v_pk_mul_f32 v[134:135], v[20:21], v[134:135]              // 0000000051C0: D3B14086 18030D14
	v_pk_mul_f32 v[136:137], v[20:21], v[136:137]              // 0000000051C8: D3B14088 18031114
	v_pk_mul_f32 v[138:139], v[20:21], v[138:139]              // 0000000051D0: D3B1408A 18031514
	v_pk_mul_f32 v[140:141], v[20:21], v[140:141]              // 0000000051D8: D3B1408C 18031914
	v_pk_mul_f32 v[142:143], v[20:21], v[142:143]              // 0000000051E0: D3B1408E 18031D14
	v_pk_mul_f32 v[144:145], v[20:21], v[144:145]              // 0000000051E8: D3B14090 18032114
	v_pk_mul_f32 v[146:147], v[20:21], v[146:147]              // 0000000051F0: D3B14092 18032514
	v_pk_mul_f32 v[148:149], v[20:21], v[148:149]              // 0000000051F8: D3B14094 18032914
	v_pk_mul_f32 v[150:151], v[20:21], v[150:151]              // 000000005200: D3B14096 18032D14
	v_pk_mul_f32 v[152:153], v[20:21], v[152:153]              // 000000005208: D3B14098 18033114
	v_pk_mul_f32 v[154:155], v[20:21], v[154:155]              // 000000005210: D3B1409A 18033514
	v_pk_mul_f32 v[156:157], v[20:21], v[156:157]              // 000000005218: D3B1409C 18033914
	v_pk_mul_f32 v[158:159], v[20:21], v[158:159]              // 000000005220: D3B1409E 18033D14
	v_pk_mul_f32 v[160:161], v[20:21], v[160:161]              // 000000005228: D3B140A0 18034114
	v_pk_mul_f32 v[162:163], v[20:21], v[162:163]              // 000000005230: D3B140A2 18034514
	v_pk_mul_f32 v[164:165], v[20:21], v[164:165]              // 000000005238: D3B140A4 18034914
	v_pk_mul_f32 v[166:167], v[20:21], v[166:167]              // 000000005240: D3B140A6 18034D14
	v_pk_mul_f32 v[168:169], v[20:21], v[168:169]              // 000000005248: D3B140A8 18035114
	v_pk_mul_f32 v[170:171], v[20:21], v[170:171]              // 000000005250: D3B140AA 18035514
	v_pk_mul_f32 v[172:173], v[20:21], v[172:173]              // 000000005258: D3B140AC 18035914
	v_pk_mul_f32 v[174:175], v[20:21], v[174:175]              // 000000005260: D3B140AE 18035D14
	s_setprio 0                                                // 000000005268: BF8F0000
	s_nop 15                                                   // 00000000526C: BF80000F
	s_nop 7                                                    // 000000005270: BF800007
	buffer_load_dword v224, v8, s[16:19], s32 offen            // 000000005274: E0501000 2004E008
	buffer_load_dword v225, v9, s[16:19], s32 offen            // 00000000527C: E0501000 2004E109
	buffer_load_dword v226, v10, s[16:19], s32 offen           // 000000005284: E0501000 2004E20A
	buffer_load_dword v227, v11, s[16:19], s32 offen           // 00000000528C: E0501000 2004E30B
	s_add_i32 s32, s65, s32                                    // 000000005294: 81202041
	s_add_u32 s34, 0xc0, s63                                   // 000000005298: 80223FFF 000000C0
	s_nop 0                                                    // 0000000052A0: BF800000
	s_cmp_lt_u32 s34, s62                                      // 0000000052A4: BF0A3E22
	s_cselect_b32 s65, s65, 0                                  // 0000000052A8: 85418041
	s_nop 0                                                    // 0000000052AC: BF800000
	ds_read_b128 v[192:195], v12                               // 0000000052B0: D9FE0000 C000000C
	ds_read_b128 v[196:199], v12 offset:32                     // 0000000052B8: D9FE0020 C400000C
	ds_read_b128 v[200:203], v12 offset:64                     // 0000000052C0: D9FE0040 C800000C
	ds_read_b128 v[204:207], v12 offset:96                     // 0000000052C8: D9FE0060 CC00000C
	ds_read_b128 v[208:211], v12 offset:4352                   // 0000000052D0: D9FE1100 D000000C
	ds_read_b128 v[212:215], v12 offset:4384                   // 0000000052D8: D9FE1120 D400000C
	ds_read_b128 v[216:219], v12 offset:4416                   // 0000000052E0: D9FE1140 D800000C
	ds_read_b128 v[220:223], v12 offset:4448                   // 0000000052E8: D9FE1160 DC00000C
	s_add_i32 s72, s72, s73                                    // 0000000052F0: 81484948
	s_addk_i32 s63, 0x40                                       // 0000000052F4: B73F0040
	s_cmp_lt_i32 s63, s62                                      // 0000000052F8: BF043E3F
	s_cbranch_scc0 label_0CFD                                  // 0000000052FC: BF8406FD
	s_waitcnt lgkmcnt(0)                                       // 000000005300: BF8CC07F
	s_nop 0                                                    // 000000005304: BF800000
	v_pk_add_f32 v[16:17], v[112:113], v[112:113]              // 000000005308: D3B24010 1802E170
	v_mfma_f32_32x32x16_fp8_fp8 v[48:63], v[192:193], v[176:177], 0// 000000005310: D3F70030 020361C0
	v_mfma_f32_32x32x16_fp8_fp8 v[48:63], v[194:195], v[178:179], v[48:63]// 000000005318: D3F70030 04C365C2
	v_mfma_f32_32x32x16_fp8_fp8 v[48:63], v[196:197], v[180:181], v[48:63]// 000000005320: D3F70030 04C369C4
	v_mfma_f32_32x32x16_fp8_fp8 v[48:63], v[198:199], v[182:183], v[48:63]// 000000005328: D3F70030 04C36DC6
	v_mfma_f32_32x32x16_fp8_fp8 v[48:63], v[200:201], v[184:185], v[48:63]// 000000005330: D3F70030 04C371C8
	v_mfma_f32_32x32x16_fp8_fp8 v[48:63], v[202:203], v[186:187], v[48:63]// 000000005338: D3F70030 04C375CA
	v_mfma_f32_32x32x16_fp8_fp8 v[48:63], v[204:205], v[188:189], v[48:63]// 000000005340: D3F70030 04C379CC
	v_mfma_f32_32x32x16_fp8_fp8 v[48:63], v[206:207], v[190:191], v[48:63]// 000000005348: D3F70030 04C37DCE
	v_mfma_f32_32x32x16_fp8_fp8 v[64:79], v[208:209], v[176:177], 0// 000000005350: D3F70040 020361D0
	v_mfma_f32_32x32x16_fp8_fp8 v[64:79], v[210:211], v[178:179], v[64:79]// 000000005358: D3F70040 050365D2
	v_mfma_f32_32x32x16_fp8_fp8 v[64:79], v[212:213], v[180:181], v[64:79]// 000000005360: D3F70040 050369D4
	v_mfma_f32_32x32x16_fp8_fp8 v[64:79], v[214:215], v[182:183], v[64:79]// 000000005368: D3F70040 05036DD6
	v_mfma_f32_32x32x16_fp8_fp8 v[64:79], v[216:217], v[184:185], v[64:79]// 000000005370: D3F70040 050371D8
	v_mfma_f32_32x32x16_fp8_fp8 v[64:79], v[218:219], v[186:187], v[64:79]// 000000005378: D3F70040 050375DA
	v_mfma_f32_32x32x16_fp8_fp8 v[64:79], v[220:221], v[188:189], v[64:79]// 000000005380: D3F70040 050379DC
	v_exp_f32_e32 v80, v80                                     // 000000005388: 7EA04150
	v_exp_f32_e32 v81, v81                                     // 00000000538C: 7EA24151
	v_exp_f32_e32 v82, v82                                     // 000000005390: 7EA44152
	v_exp_f32_e32 v83, v83                                     // 000000005394: 7EA64153
	v_exp_f32_e32 v84, v84                                     // 000000005398: 7EA84154
	v_exp_f32_e32 v85, v85                                     // 00000000539C: 7EAA4155
	v_exp_f32_e32 v86, v86                                     // 0000000053A0: 7EAC4156
	v_exp_f32_e32 v87, v87                                     // 0000000053A4: 7EAE4157
	v_exp_f32_e32 v88, v88                                     // 0000000053A8: 7EB04158
	v_exp_f32_e32 v89, v89                                     // 0000000053AC: 7EB24159
	v_exp_f32_e32 v90, v90                                     // 0000000053B0: 7EB4415A
	v_exp_f32_e32 v91, v91                                     // 0000000053B4: 7EB6415B
	v_exp_f32_e32 v92, v92                                     // 0000000053B8: 7EB8415C
	v_exp_f32_e32 v93, v93                                     // 0000000053BC: 7EBA415D
	v_exp_f32_e32 v94, v94                                     // 0000000053C0: 7EBC415E
	v_exp_f32_e32 v95, v95                                     // 0000000053C4: 7EBE415F
	v_exp_f32_e32 v96, v96                                     // 0000000053C8: 7EC04160
	v_exp_f32_e32 v97, v97                                     // 0000000053CC: 7EC24161
	v_exp_f32_e32 v98, v98                                     // 0000000053D0: 7EC44162
	v_exp_f32_e32 v99, v99                                     // 0000000053D4: 7EC64163
	v_exp_f32_e32 v100, v100                                   // 0000000053D8: 7EC84164
	v_exp_f32_e32 v101, v101                                   // 0000000053DC: 7ECA4165
	v_exp_f32_e32 v102, v102                                   // 0000000053E0: 7ECC4166
	v_exp_f32_e32 v103, v103                                   // 0000000053E4: 7ECE4167
	v_exp_f32_e32 v104, v104                                   // 0000000053E8: 7ED04168
	v_exp_f32_e32 v105, v105                                   // 0000000053EC: 7ED24169
	v_exp_f32_e32 v106, v106                                   // 0000000053F0: 7ED4416A
	v_exp_f32_e32 v107, v107                                   // 0000000053F4: 7ED6416B
	v_exp_f32_e32 v108, v108                                   // 0000000053F8: 7ED8416C
	v_exp_f32_e32 v109, v109                                   // 0000000053FC: 7EDA416D
	v_exp_f32_e32 v110, v110                                   // 000000005400: 7EDC416E
	v_exp_f32_e32 v111, v111                                   // 000000005404: 7EDE416F
	v_mul_f32_e32 v22, v20, v22                                // 000000005408: 0A2C2D14
	s_nop 0                                                    // 00000000540C: BF800000
	v_pk_add_f32 v[38:39], v[80:81], v[82:83]                  // 000000005410: D3B24026 1802A550
	v_pk_add_f32 v[38:39], v[84:85], v[38:39]                  // 000000005418: D3B24026 18024D54
	v_pk_add_f32 v[38:39], v[86:87], v[38:39]                  // 000000005420: D3B24026 18024D56
	v_pk_add_f32 v[38:39], v[88:89], v[38:39]                  // 000000005428: D3B24026 18024D58
	v_pk_add_f32 v[38:39], v[90:91], v[38:39]                  // 000000005430: D3B24026 18024D5A
	v_pk_add_f32 v[38:39], v[92:93], v[38:39]                  // 000000005438: D3B24026 18024D5C
	v_pk_add_f32 v[38:39], v[94:95], v[38:39]                  // 000000005440: D3B24026 18024D5E
	v_pk_add_f32 v[38:39], v[96:97], v[38:39]                  // 000000005448: D3B24026 18024D60
	v_pk_add_f32 v[38:39], v[98:99], v[38:39]                  // 000000005450: D3B24026 18024D62
	v_pk_add_f32 v[38:39], v[100:101], v[38:39]                // 000000005458: D3B24026 18024D64
	v_pk_add_f32 v[38:39], v[102:103], v[38:39]                // 000000005460: D3B24026 18024D66
	v_pk_add_f32 v[38:39], v[104:105], v[38:39]                // 000000005468: D3B24026 18024D68
	v_pk_add_f32 v[38:39], v[106:107], v[38:39]                // 000000005470: D3B24026 18024D6A
	v_pk_add_f32 v[38:39], v[108:109], v[38:39]                // 000000005478: D3B24026 18024D6C
	v_pk_add_f32 v[38:39], v[110:111], v[38:39]                // 000000005480: D3B24026 18024D6E
	v_add_f32_e32 v38, v38, v39                                // 000000005488: 024C4F26
	v_add_f32_e32 v22, v38, v22                                // 00000000548C: 022C2D26
	v_cvt_pk_fp8_f32 v80, v80, v81                             // 000000005490: D2A20050 0002A350
	v_cvt_pk_fp8_f32 v80, v82, v83 op_sel:[0,0,1]              // 000000005498: D2A24050 0002A752
	v_cvt_pk_fp8_f32 v81, v84, v85                             // 0000000054A0: D2A20051 0002AB54
	v_cvt_pk_fp8_f32 v81, v86, v87 op_sel:[0,0,1]              // 0000000054A8: D2A24051 0002AF56
	v_cvt_pk_fp8_f32 v82, v88, v89                             // 0000000054B0: D2A20052 0002B358
	v_cvt_pk_fp8_f32 v82, v90, v91 op_sel:[0,0,1]              // 0000000054B8: D2A24052 0002B75A
	v_cvt_pk_fp8_f32 v83, v92, v93                             // 0000000054C0: D2A20053 0002BB5C
	v_cvt_pk_fp8_f32 v83, v94, v95 op_sel:[0,0,1]              // 0000000054C8: D2A24053 0002BF5E
	v_cvt_pk_fp8_f32 v84, v96, v97                             // 0000000054D0: D2A20054 0002C360
	v_cvt_pk_fp8_f32 v84, v98, v99 op_sel:[0,0,1]              // 0000000054D8: D2A24054 0002C762
	v_cvt_pk_fp8_f32 v85, v100, v101                           // 0000000054E0: D2A20055 0002CB64
	v_cvt_pk_fp8_f32 v85, v102, v103 op_sel:[0,0,1]            // 0000000054E8: D2A24055 0002CF66
	v_cvt_pk_fp8_f32 v86, v104, v105                           // 0000000054F0: D2A20056 0002D368
	v_cvt_pk_fp8_f32 v86, v106, v107 op_sel:[0,0,1]            // 0000000054F8: D2A24056 0002D76A
	v_cvt_pk_fp8_f32 v87, v108, v109                           // 000000005500: D2A20057 0002DB6C
	v_cvt_pk_fp8_f32 v87, v110, v111 op_sel:[0,0,1]            // 000000005508: D2A24057 0002DF6E
	v_mfma_f32_32x32x16_fp8_fp8 v[64:79], v[222:223], v[190:191], v[64:79]// 000000005510: D3F70040 05037DDE
	s_waitcnt vmcnt(8)                                         // 000000005518: BF8C0F78
	s_barrier                                                  // 00000000551C: BF8A0000
	v_perm_b32 v16, v229, v228, s69                            // 000000005520: D1ED0010 0117C9E5
	v_perm_b32 v17, v229, v228, s70                            // 000000005528: D1ED0011 011BC9E5
	v_perm_b32 v18, v231, v230, s69                            // 000000005530: D1ED0012 0117CDE7
	v_perm_b32 v19, v231, v230, s70                            // 000000005538: D1ED0013 011BCDE7
	v_perm_b32 v232, v18, v16, s68                             // 000000005540: D1ED00E8 01122112
	v_perm_b32 v233, v18, v16, s67                             // 000000005548: D1ED00E9 010E2112
	v_perm_b32 v234, v19, v17, s68                             // 000000005550: D1ED00EA 01122313
	v_perm_b32 v235, v19, v17, s67                             // 000000005558: D1ED00EB 010E2313
	s_barrier                                                  // 000000005560: BF8A0000
	ds_write_b32 v14, v232 offset:17408                        // 000000005564: D81A4400 0000E80E
	ds_write_b32 v14, v233 offset:19488                        // 00000000556C: D81A4C20 0000E90E
	ds_write_b32 v14, v234 offset:21568                        // 000000005574: D81A5440 0000EA0E
	ds_write_b32 v14, v235 offset:23648                        // 00000000557C: D81A5C60 0000EB0E
	s_waitcnt lgkmcnt(0)                                       // 000000005584: BF8CC07F
	s_barrier                                                  // 000000005588: BF8A0000
	s_mov_b32 m0, s54                                          // 00000000558C: BEFC0036
	buffer_load_dword v4, s[12:15], s57 offen lds              // 000000005590: E0511000 39030004
	s_add_u32 m0, 0x880, m0                                    // 000000005598: 807C7CFF 00000880
	buffer_load_dword v5, s[12:15], s57 offen lds              // 0000000055A0: E0511000 39030005
	s_add_u32 m0, 0x880, m0                                    // 0000000055A8: 807C7CFF 00000880
	buffer_load_dword v6, s[12:15], s57 offen lds              // 0000000055B0: E0511000 39030006
	s_add_u32 m0, 0x880, m0                                    // 0000000055B8: 807C7CFF 00000880
	buffer_load_dword v7, s[12:15], s57 offen lds              // 0000000055C0: E0511000 39030007
	s_add_u32 m0, 0x880, m0                                    // 0000000055C8: 807C7CFF 00000880
	s_add_i32 s57, s64, s57                                    // 0000000055D0: 81393940
	s_add_u32 s34, 0x100, s63                                  // 0000000055D4: 80223FFF 00000100
	s_nop 0                                                    // 0000000055DC: BF800000
	s_cmp_lt_u32 s34, s62                                      // 0000000055E0: BF0A3E22
	s_cselect_b32 s64, s64, 0                                  // 0000000055E4: 85408040
	ds_read_b32 v192, v13 offset:17408                         // 0000000055E8: D86C4400 C000000D
	ds_read_b32 v193, v13 offset:17664                         // 0000000055F0: D86C4500 C100000D
	ds_read_b32 v194, v13 offset:17920                         // 0000000055F8: D86C4600 C200000D
	ds_read_b32 v195, v13 offset:18176                         // 000000005600: D86C4700 C300000D
	ds_read_b32 v196, v13 offset:18432                         // 000000005608: D86C4800 C400000D
	ds_read_b32 v197, v13 offset:18688                         // 000000005610: D86C4900 C500000D
	ds_read_b32 v198, v13 offset:18944                         // 000000005618: D86C4A00 C600000D
	ds_read_b32 v199, v13 offset:19200                         // 000000005620: D86C4B00 C700000D
	ds_read_b32 v200, v13 offset:17440                         // 000000005628: D86C4420 C800000D
	ds_read_b32 v201, v13 offset:17696                         // 000000005630: D86C4520 C900000D
	ds_read_b32 v202, v13 offset:17952                         // 000000005638: D86C4620 CA00000D
	ds_read_b32 v203, v13 offset:18208                         // 000000005640: D86C4720 CB00000D
	ds_read_b32 v204, v13 offset:18464                         // 000000005648: D86C4820 CC00000D
	ds_read_b32 v205, v13 offset:18720                         // 000000005650: D86C4920 CD00000D
	ds_read_b32 v206, v13 offset:18976                         // 000000005658: D86C4A20 CE00000D
	ds_read_b32 v207, v13 offset:19232                         // 000000005660: D86C4B20 CF00000D
	ds_read_b32 v208, v13 offset:17472                         // 000000005668: D86C4440 D000000D
	ds_read_b32 v209, v13 offset:17728                         // 000000005670: D86C4540 D100000D
	ds_read_b32 v210, v13 offset:17984                         // 000000005678: D86C4640 D200000D
	ds_read_b32 v211, v13 offset:18240                         // 000000005680: D86C4740 D300000D
	ds_read_b32 v212, v13 offset:18496                         // 000000005688: D86C4840 D400000D
	ds_read_b32 v213, v13 offset:18752                         // 000000005690: D86C4940 D500000D
	ds_read_b32 v214, v13 offset:19008                         // 000000005698: D86C4A40 D600000D
	ds_read_b32 v215, v13 offset:19264                         // 0000000056A0: D86C4B40 D700000D
	ds_read_b32 v216, v13 offset:17504                         // 0000000056A8: D86C4460 D800000D
	ds_read_b32 v217, v13 offset:17760                         // 0000000056B0: D86C4560 D900000D
	ds_read_b32 v218, v13 offset:18016                         // 0000000056B8: D86C4660 DA00000D
	ds_read_b32 v219, v13 offset:18272                         // 0000000056C0: D86C4760 DB00000D
	ds_read_b32 v220, v13 offset:18528                         // 0000000056C8: D86C4860 DC00000D
	ds_read_b32 v221, v13 offset:18784                         // 0000000056D0: D86C4960 DD00000D
	ds_read_b32 v222, v13 offset:19040                         // 0000000056D8: D86C4A60 DE00000D
	ds_read_b32 v223, v13 offset:19296                         // 0000000056E0: D86C4B60 DF00000D
	s_cmp_lt_i32 s72, s76                                      // 0000000056E8: BF044C48
	s_cbranch_scc1 label_077F                                  // 0000000056EC: BF850083
	s_sub_i32 s34, s7, s72                                     // 0000000056F0: 81A24807
	v_sub_i32 v16, s34, v30                                    // 0000000056F4: D29D0010 00023C22
	v_cmp_lt_i32_e64 s[50:51], 0, v16                          // 0000000056FC: D0C10032 00022080
	v_cmp_lt_i32_e64 s[52:53], 1, v16                          // 000000005704: D0C10034 00022081
	v_cndmask_b32_e64 v48, v31, v48, s[50:51]                  // 00000000570C: D1000030 00CA611F
	v_cndmask_b32_e64 v49, v31, v49, s[52:53]                  // 000000005714: D1000031 00D2631F
	v_cmp_lt_i32_e64 s[50:51], 2, v16                          // 00000000571C: D0C10032 00022082
	v_cmp_lt_i32_e64 s[52:53], 3, v16                          // 000000005724: D0C10034 00022083
	v_cndmask_b32_e64 v50, v31, v50, s[50:51]                  // 00000000572C: D1000032 00CA651F
	v_cndmask_b32_e64 v51, v31, v51, s[52:53]                  // 000000005734: D1000033 00D2671F
	v_cmp_lt_i32_e64 s[50:51], 8, v16                          // 00000000573C: D0C10032 00022088
	v_cmp_lt_i32_e64 s[52:53], 9, v16                          // 000000005744: D0C10034 00022089
	v_cndmask_b32_e64 v52, v31, v52, s[50:51]                  // 00000000574C: D1000034 00CA691F
	v_cndmask_b32_e64 v53, v31, v53, s[52:53]                  // 000000005754: D1000035 00D26B1F
	v_cmp_lt_i32_e64 s[50:51], 10, v16                         // 00000000575C: D0C10032 0002208A
	v_cmp_lt_i32_e64 s[52:53], 11, v16                         // 000000005764: D0C10034 0002208B
	v_cndmask_b32_e64 v54, v31, v54, s[50:51]                  // 00000000576C: D1000036 00CA6D1F
	v_cndmask_b32_e64 v55, v31, v55, s[52:53]                  // 000000005774: D1000037 00D26F1F
	v_cmp_lt_i32_e64 s[50:51], 16, v16                         // 00000000577C: D0C10032 00022090
	v_cmp_lt_i32_e64 s[52:53], 17, v16                         // 000000005784: D0C10034 00022091
	v_cndmask_b32_e64 v56, v31, v56, s[50:51]                  // 00000000578C: D1000038 00CA711F
	v_cndmask_b32_e64 v57, v31, v57, s[52:53]                  // 000000005794: D1000039 00D2731F
	v_cmp_lt_i32_e64 s[50:51], 18, v16                         // 00000000579C: D0C10032 00022092
	v_cmp_lt_i32_e64 s[52:53], 19, v16                         // 0000000057A4: D0C10034 00022093
	v_cndmask_b32_e64 v58, v31, v58, s[50:51]                  // 0000000057AC: D100003A 00CA751F
	v_cndmask_b32_e64 v59, v31, v59, s[52:53]                  // 0000000057B4: D100003B 00D2771F
	v_cmp_lt_i32_e64 s[50:51], 24, v16                         // 0000000057BC: D0C10032 00022098
	v_cmp_lt_i32_e64 s[52:53], 25, v16                         // 0000000057C4: D0C10034 00022099
	v_cndmask_b32_e64 v60, v31, v60, s[50:51]                  // 0000000057CC: D100003C 00CA791F
	v_cndmask_b32_e64 v61, v31, v61, s[52:53]                  // 0000000057D4: D100003D 00D27B1F
	v_cmp_lt_i32_e64 s[50:51], 26, v16                         // 0000000057DC: D0C10032 0002209A
	v_cmp_lt_i32_e64 s[52:53], 27, v16                         // 0000000057E4: D0C10034 0002209B
	v_cndmask_b32_e64 v62, v31, v62, s[50:51]                  // 0000000057EC: D100003E 00CA7D1F
	v_cndmask_b32_e64 v63, v31, v63, s[52:53]                  // 0000000057F4: D100003F 00D27F1F
	v_cmp_lt_i32_e64 s[50:51], 32, v16                         // 0000000057FC: D0C10032 000220A0
	v_cmp_lt_i32_e64 s[52:53], 33, v16                         // 000000005804: D0C10034 000220A1
	v_cndmask_b32_e64 v64, v31, v64, s[50:51]                  // 00000000580C: D1000040 00CA811F
	v_cndmask_b32_e64 v65, v31, v65, s[52:53]                  // 000000005814: D1000041 00D2831F
	v_cmp_lt_i32_e64 s[50:51], 34, v16                         // 00000000581C: D0C10032 000220A2
	v_cmp_lt_i32_e64 s[52:53], 35, v16                         // 000000005824: D0C10034 000220A3
	v_cndmask_b32_e64 v66, v31, v66, s[50:51]                  // 00000000582C: D1000042 00CA851F
	v_cndmask_b32_e64 v67, v31, v67, s[52:53]                  // 000000005834: D1000043 00D2871F
	v_cmp_lt_i32_e64 s[50:51], 40, v16                         // 00000000583C: D0C10032 000220A8
	v_cmp_lt_i32_e64 s[52:53], 41, v16                         // 000000005844: D0C10034 000220A9
	v_cndmask_b32_e64 v68, v31, v68, s[50:51]                  // 00000000584C: D1000044 00CA891F
	v_cndmask_b32_e64 v69, v31, v69, s[52:53]                  // 000000005854: D1000045 00D28B1F
	v_cmp_lt_i32_e64 s[50:51], 42, v16                         // 00000000585C: D0C10032 000220AA
	v_cmp_lt_i32_e64 s[52:53], 43, v16                         // 000000005864: D0C10034 000220AB
	v_cndmask_b32_e64 v70, v31, v70, s[50:51]                  // 00000000586C: D1000046 00CA8D1F
	v_cndmask_b32_e64 v71, v31, v71, s[52:53]                  // 000000005874: D1000047 00D28F1F
	v_cmp_lt_i32_e64 s[50:51], 48, v16                         // 00000000587C: D0C10032 000220B0
	v_cmp_lt_i32_e64 s[52:53], 49, v16                         // 000000005884: D0C10034 000220B1
	v_cndmask_b32_e64 v72, v31, v72, s[50:51]                  // 00000000588C: D1000048 00CA911F
	v_cndmask_b32_e64 v73, v31, v73, s[52:53]                  // 000000005894: D1000049 00D2931F
	v_cmp_lt_i32_e64 s[50:51], 50, v16                         // 00000000589C: D0C10032 000220B2
	v_cmp_lt_i32_e64 s[52:53], 51, v16                         // 0000000058A4: D0C10034 000220B3
	v_cndmask_b32_e64 v74, v31, v74, s[50:51]                  // 0000000058AC: D100004A 00CA951F
	v_cndmask_b32_e64 v75, v31, v75, s[52:53]                  // 0000000058B4: D100004B 00D2971F
	v_cmp_lt_i32_e64 s[50:51], 56, v16                         // 0000000058BC: D0C10032 000220B8
	v_cmp_lt_i32_e64 s[52:53], 57, v16                         // 0000000058C4: D0C10034 000220B9
	v_cndmask_b32_e64 v76, v31, v76, s[50:51]                  // 0000000058CC: D100004C 00CA991F
	v_cndmask_b32_e64 v77, v31, v77, s[52:53]                  // 0000000058D4: D100004D 00D29B1F
	v_cmp_lt_i32_e64 s[50:51], 58, v16                         // 0000000058DC: D0C10032 000220BA
	v_cmp_lt_i32_e64 s[52:53], 59, v16                         // 0000000058E4: D0C10034 000220BB
	v_cndmask_b32_e64 v78, v31, v78, s[50:51]                  // 0000000058EC: D100004E 00CA9D1F
	v_cndmask_b32_e64 v79, v31, v79, s[52:53]                  // 0000000058F4: D100004F 00D29F1F

00000000000058fc <label_077F>:
	s_waitcnt lgkmcnt(0)                                       // 0000000058FC: BF8CC07F
	s_barrier                                                  // 000000005900: BF8A0000
	v_max3_f32 v25, v48, v49, v28                              // 000000005904: D1D30019 04726330
	v_max3_f32 v25, v50, v51, v25                              // 00000000590C: D1D30019 04666732
	v_max3_f32 v25, v52, v53, v25                              // 000000005914: D1D30019 04666B34
	v_max3_f32 v25, v54, v55, v25                              // 00000000591C: D1D30019 04666F36
	v_max3_f32 v25, v56, v57, v25                              // 000000005924: D1D30019 04667338
	v_max3_f32 v25, v58, v59, v25                              // 00000000592C: D1D30019 0466773A
	v_max3_f32 v25, v60, v61, v25                              // 000000005934: D1D30019 04667B3C
	v_max3_f32 v25, v62, v63, v25                              // 00000000593C: D1D30019 04667F3E
	v_max3_f32 v25, v64, v65, v25                              // 000000005944: D1D30019 04668340
	v_max3_f32 v25, v66, v67, v25                              // 00000000594C: D1D30019 04668742
	v_max3_f32 v25, v68, v69, v25                              // 000000005954: D1D30019 04668B44
	v_max3_f32 v25, v70, v71, v25                              // 00000000595C: D1D30019 04668F46
	v_max3_f32 v25, v72, v73, v25                              // 000000005964: D1D30019 04669348
	v_max3_f32 v25, v74, v75, v25                              // 00000000596C: D1D30019 0466974A
	v_max3_f32 v25, v76, v77, v25                              // 000000005974: D1D30019 04669B4C
	v_max3_f32 v25, v78, v79, v25                              // 00000000597C: D1D30019 04669F4E
	v_mfma_f32_32x32x16_fp8_fp8 v[112:127], v[192:193], v[80:81], v[112:127]// 000000005984: D3F70070 05C2A1C0
	ds_permute_b32 v24, v32, v25                               // 00000000598C: D87C0000 18001920
	v_mfma_f32_32x32x16_fp8_fp8 v[112:127], v[194:195], v[82:83], v[112:127]// 000000005994: D3F70070 05C2A5C2
	v_mfma_f32_32x32x16_fp8_fp8 v[112:127], v[196:197], v[84:85], v[112:127]// 00000000599C: D3F70070 05C2A9C4
	v_mfma_f32_32x32x16_fp8_fp8 v[112:127], v[198:199], v[86:87], v[112:127]// 0000000059A4: D3F70070 05C2ADC6
	v_mfma_f32_32x32x16_fp8_fp8 v[128:143], v[200:201], v[80:81], v[128:143]// 0000000059AC: D3F70080 0602A1C8
	v_mfma_f32_32x32x16_fp8_fp8 v[128:143], v[202:203], v[82:83], v[128:143]// 0000000059B4: D3F70080 0602A5CA
	v_mfma_f32_32x32x16_fp8_fp8 v[128:143], v[204:205], v[84:85], v[128:143]// 0000000059BC: D3F70080 0602A9CC
	v_mfma_f32_32x32x16_fp8_fp8 v[128:143], v[206:207], v[86:87], v[128:143]// 0000000059C4: D3F70080 0602ADCE
	v_mfma_f32_32x32x16_fp8_fp8 v[144:159], v[208:209], v[80:81], v[144:159]// 0000000059CC: D3F70090 0642A1D0
	s_waitcnt lgkmcnt(0)                                       // 0000000059D4: BF8CC07F
	v_mfma_f32_32x32x16_fp8_fp8 v[144:159], v[210:211], v[82:83], v[144:159]// 0000000059D8: D3F70090 0642A5D2
	v_mfma_f32_32x32x16_fp8_fp8 v[144:159], v[212:213], v[84:85], v[144:159]// 0000000059E0: D3F70090 0642A9D4
	v_mfma_f32_32x32x16_fp8_fp8 v[144:159], v[214:215], v[86:87], v[144:159]// 0000000059E8: D3F70090 0642ADD6
	v_mfma_f32_32x32x16_fp8_fp8 v[160:175], v[216:217], v[80:81], v[160:175]// 0000000059F0: D3F700A0 0682A1D8
	v_mfma_f32_32x32x16_fp8_fp8 v[160:175], v[218:219], v[82:83], v[160:175]// 0000000059F8: D3F700A0 0682A5DA
	v_mfma_f32_32x32x16_fp8_fp8 v[160:175], v[220:221], v[84:85], v[160:175]// 000000005A00: D3F700A0 0682A9DC
	v_max_f32_e32 v25, v24, v25                                // 000000005A08: 16323318
	v_sub_f32_e32 v20, v28, v25                                // 000000005A0C: 0428331C
	v_mov_b32_e32 v28, v25                                     // 000000005A10: 7E380319
	v_mul_f32_e32 v27, s74, v25                                // 000000005A14: 0A36324A
	v_mul_f32_e32 v20, s74, v20                                // 000000005A18: 0A28284A
	v_exp_f32_e32 v20, v20                                     // 000000005A1C: 7E284114
	v_add_f32_e64 v36, 0, -v27                                 // 000000005A20: D1010024 40023680
	v_mov_b32_e32 v37, v36                                     // 000000005A28: 7E4A0324
	v_pk_fma_f32 v[48:49], v[48:49], s[74:75], v[36:37]        // 000000005A2C: D3B04030 1C909530
	v_pk_fma_f32 v[50:51], v[50:51], s[74:75], v[36:37]        // 000000005A34: D3B04032 1C909532
	v_pk_fma_f32 v[52:53], v[52:53], s[74:75], v[36:37]        // 000000005A3C: D3B04034 1C909534
	v_pk_fma_f32 v[54:55], v[54:55], s[74:75], v[36:37]        // 000000005A44: D3B04036 1C909536
	v_pk_fma_f32 v[56:57], v[56:57], s[74:75], v[36:37]        // 000000005A4C: D3B04038 1C909538
	v_pk_fma_f32 v[58:59], v[58:59], s[74:75], v[36:37]        // 000000005A54: D3B0403A 1C90953A
	v_pk_fma_f32 v[60:61], v[60:61], s[74:75], v[36:37]        // 000000005A5C: D3B0403C 1C90953C
	v_pk_fma_f32 v[62:63], v[62:63], s[74:75], v[36:37]        // 000000005A64: D3B0403E 1C90953E
	v_pk_fma_f32 v[64:65], v[64:65], s[74:75], v[36:37]        // 000000005A6C: D3B04040 1C909540
	v_pk_fma_f32 v[66:67], v[66:67], s[74:75], v[36:37]        // 000000005A74: D3B04042 1C909542
	v_pk_fma_f32 v[68:69], v[68:69], s[74:75], v[36:37]        // 000000005A7C: D3B04044 1C909544
	v_pk_fma_f32 v[70:71], v[70:71], s[74:75], v[36:37]        // 000000005A84: D3B04046 1C909546
	v_pk_fma_f32 v[72:73], v[72:73], s[74:75], v[36:37]        // 000000005A8C: D3B04048 1C909548
	v_pk_fma_f32 v[74:75], v[74:75], s[74:75], v[36:37]        // 000000005A94: D3B0404A 1C90954A
	v_pk_fma_f32 v[76:77], v[76:77], s[74:75], v[36:37]        // 000000005A9C: D3B0404C 1C90954C
	v_pk_fma_f32 v[78:79], v[78:79], s[74:75], v[36:37]        // 000000005AA4: D3B0404E 1C90954E
	v_mfma_f32_32x32x16_fp8_fp8 v[160:175], v[222:223], v[86:87], v[160:175]// 000000005AAC: D3F700A0 0682ADDE
	s_setprio 1                                                // 000000005AB4: BF8F0001
	s_waitcnt vmcnt(8)                                         // 000000005AB8: BF8C0F78
	s_barrier                                                  // 000000005ABC: BF8A0000
	v_mov_b32_e32 v21, v20                                     // 000000005AC0: 7E2A0314
	v_mul_f32_e32 v112, v20, v112                              // 000000005AC4: 0AE0E114
	v_mul_f32_e32 v113, v20, v113                              // 000000005AC8: 0AE2E314
	v_pk_mul_f32 v[114:115], v[20:21], v[114:115]              // 000000005ACC: D3B14072 1802E514
	v_pk_mul_f32 v[116:117], v[20:21], v[116:117]              // 000000005AD4: D3B14074 1802E914
	v_pk_mul_f32 v[118:119], v[20:21], v[118:119]              // 000000005ADC: D3B14076 1802ED14
	v_pk_mul_f32 v[120:121], v[20:21], v[120:121]              // 000000005AE4: D3B14078 1802F114
	v_pk_mul_f32 v[122:123], v[20:21], v[122:123]              // 000000005AEC: D3B1407A 1802F514
	v_pk_mul_f32 v[124:125], v[20:21], v[124:125]              // 000000005AF4: D3B1407C 1802F914
	v_pk_mul_f32 v[126:127], v[20:21], v[126:127]              // 000000005AFC: D3B1407E 1802FD14
	v_pk_mul_f32 v[128:129], v[20:21], v[128:129]              // 000000005B04: D3B14080 18030114
	v_pk_mul_f32 v[130:131], v[20:21], v[130:131]              // 000000005B0C: D3B14082 18030514
	v_pk_mul_f32 v[132:133], v[20:21], v[132:133]              // 000000005B14: D3B14084 18030914
	v_pk_mul_f32 v[134:135], v[20:21], v[134:135]              // 000000005B1C: D3B14086 18030D14
	v_pk_mul_f32 v[136:137], v[20:21], v[136:137]              // 000000005B24: D3B14088 18031114
	v_pk_mul_f32 v[138:139], v[20:21], v[138:139]              // 000000005B2C: D3B1408A 18031514
	v_pk_mul_f32 v[140:141], v[20:21], v[140:141]              // 000000005B34: D3B1408C 18031914
	v_pk_mul_f32 v[142:143], v[20:21], v[142:143]              // 000000005B3C: D3B1408E 18031D14
	v_pk_mul_f32 v[144:145], v[20:21], v[144:145]              // 000000005B44: D3B14090 18032114
	v_pk_mul_f32 v[146:147], v[20:21], v[146:147]              // 000000005B4C: D3B14092 18032514
	v_pk_mul_f32 v[148:149], v[20:21], v[148:149]              // 000000005B54: D3B14094 18032914
	v_pk_mul_f32 v[150:151], v[20:21], v[150:151]              // 000000005B5C: D3B14096 18032D14
	v_pk_mul_f32 v[152:153], v[20:21], v[152:153]              // 000000005B64: D3B14098 18033114
	v_pk_mul_f32 v[154:155], v[20:21], v[154:155]              // 000000005B6C: D3B1409A 18033514
	v_pk_mul_f32 v[156:157], v[20:21], v[156:157]              // 000000005B74: D3B1409C 18033914
	v_pk_mul_f32 v[158:159], v[20:21], v[158:159]              // 000000005B7C: D3B1409E 18033D14
	v_pk_mul_f32 v[160:161], v[20:21], v[160:161]              // 000000005B84: D3B140A0 18034114
	v_pk_mul_f32 v[162:163], v[20:21], v[162:163]              // 000000005B8C: D3B140A2 18034514
	v_pk_mul_f32 v[164:165], v[20:21], v[164:165]              // 000000005B94: D3B140A4 18034914
	v_pk_mul_f32 v[166:167], v[20:21], v[166:167]              // 000000005B9C: D3B140A6 18034D14
	v_pk_mul_f32 v[168:169], v[20:21], v[168:169]              // 000000005BA4: D3B140A8 18035114
	v_pk_mul_f32 v[170:171], v[20:21], v[170:171]              // 000000005BAC: D3B140AA 18035514
	v_pk_mul_f32 v[172:173], v[20:21], v[172:173]              // 000000005BB4: D3B140AC 18035914
	v_pk_mul_f32 v[174:175], v[20:21], v[174:175]              // 000000005BBC: D3B140AE 18035D14
	s_setprio 0                                                // 000000005BC4: BF8F0000
	s_nop 15                                                   // 000000005BC8: BF80000F
	s_nop 7                                                    // 000000005BCC: BF800007
	buffer_load_dword v228, v8, s[16:19], s32 offen            // 000000005BD0: E0501000 2004E408
	buffer_load_dword v229, v9, s[16:19], s32 offen            // 000000005BD8: E0501000 2004E509
	buffer_load_dword v230, v10, s[16:19], s32 offen           // 000000005BE0: E0501000 2004E60A
	buffer_load_dword v231, v11, s[16:19], s32 offen           // 000000005BE8: E0501000 2004E70B
	s_add_i32 s32, s65, s32                                    // 000000005BF0: 81202041
	s_add_u32 s34, 0xc0, s63                                   // 000000005BF4: 80223FFF 000000C0
	s_nop 0                                                    // 000000005BFC: BF800000
	s_cmp_lt_u32 s34, s62                                      // 000000005C00: BF0A3E22
	s_cselect_b32 s65, s65, 0                                  // 000000005C04: 85418041
	s_nop 0                                                    // 000000005C08: BF800000
	ds_read_b128 v[192:195], v12 offset:8704                   // 000000005C0C: D9FE2200 C000000C
	ds_read_b128 v[196:199], v12 offset:8736                   // 000000005C14: D9FE2220 C400000C
	ds_read_b128 v[200:203], v12 offset:8768                   // 000000005C1C: D9FE2240 C800000C
	ds_read_b128 v[204:207], v12 offset:8800                   // 000000005C24: D9FE2260 CC00000C
	ds_read_b128 v[208:211], v12 offset:13056                  // 000000005C2C: D9FE3300 D000000C
	ds_read_b128 v[212:215], v12 offset:13088                  // 000000005C34: D9FE3320 D400000C
	ds_read_b128 v[216:219], v12 offset:13120                  // 000000005C3C: D9FE3340 D800000C
	ds_read_b128 v[220:223], v12 offset:13152                  // 000000005C44: D9FE3360 DC00000C
	s_add_i32 s72, s72, s73                                    // 000000005C4C: 81484948
	s_addk_i32 s63, 0x40                                       // 000000005C50: B73F0040
	s_cmp_lt_i32 s63, s62                                      // 000000005C54: BF043E3F
	s_cbranch_scc0 label_0CFD                                  // 000000005C58: BF8404A6
	s_branch label_03A9                                        // 000000005C5C: BF82FB51

0000000000005c60 <label_0858>:
	s_setprio 1                                                // 000000005C60: BF8F0001
	s_barrier                                                  // 000000005C64: BF8A0000

0000000000005c68 <label_085A>:
	buffer_load_dword v228, v8, s[16:19], s32 offen            // 000000005C68: E0501000 2004E408
	buffer_load_dword v229, v9, s[16:19], s32 offen            // 000000005C70: E0501000 2004E509
	buffer_load_dword v230, v10, s[16:19], s32 offen           // 000000005C78: E0501000 2004E60A
	buffer_load_dword v231, v11, s[16:19], s32 offen           // 000000005C80: E0501000 2004E70B
	s_add_i32 s32, s65, s32                                    // 000000005C88: 81202041
	s_add_u32 s34, 0x80, s63                                   // 000000005C8C: 80223FFF 00000080
	s_nop 0                                                    // 000000005C94: BF800000
	s_cmp_lt_u32 s34, s62                                      // 000000005C98: BF0A3E22
	s_cselect_b32 s65, s65, 0                                  // 000000005C9C: 85418041
	ds_read_b128 v[192:195], v12 offset:8704                   // 000000005CA0: D9FE2200 C000000C
	ds_read_b128 v[196:199], v12 offset:8736                   // 000000005CA8: D9FE2220 C400000C
	ds_read_b128 v[200:203], v12 offset:8768                   // 000000005CB0: D9FE2240 C800000C
	ds_read_b128 v[204:207], v12 offset:8800                   // 000000005CB8: D9FE2260 CC00000C
	ds_read_b128 v[208:211], v12 offset:13056                  // 000000005CC0: D9FE3300 D000000C
	ds_read_b128 v[212:215], v12 offset:13088                  // 000000005CC8: D9FE3320 D400000C
	ds_read_b128 v[216:219], v12 offset:13120                  // 000000005CD0: D9FE3340 D800000C
	ds_read_b128 v[220:223], v12 offset:13152                  // 000000005CD8: D9FE3360 DC00000C
	s_waitcnt vmcnt(8) lgkmcnt(0)                              // 000000005CE0: BF8C0078
	s_barrier                                                  // 000000005CE4: BF8A0000
	s_barrier                                                  // 000000005CE8: BF8A0000
	v_perm_b32 v16, v225, v224, s69                            // 000000005CEC: D1ED0010 0117C1E1
	v_perm_b32 v17, v225, v224, s70                            // 000000005CF4: D1ED0011 011BC1E1
	v_perm_b32 v18, v227, v226, s69                            // 000000005CFC: D1ED0012 0117C5E3
	v_perm_b32 v19, v227, v226, s70                            // 000000005D04: D1ED0013 011BC5E3
	v_perm_b32 v232, v18, v16, s68                             // 000000005D0C: D1ED00E8 01122112
	v_perm_b32 v233, v18, v16, s67                             // 000000005D14: D1ED00E9 010E2112
	v_perm_b32 v234, v19, v17, s68                             // 000000005D1C: D1ED00EA 01122313
	v_perm_b32 v235, v19, v17, s67                             // 000000005D24: D1ED00EB 010E2313
	v_mfma_f32_32x32x16_fp8_fp8 v[80:95], v[192:193], v[176:177], 0// 000000005D2C: D3F70050 020361C0
	ds_write_b32 v14, v232 offset:17408                        // 000000005D34: D81A4400 0000E80E
	v_mfma_f32_32x32x16_fp8_fp8 v[80:95], v[194:195], v[178:179], v[80:95]// 000000005D3C: D3F70050 054365C2
	ds_write_b32 v14, v233 offset:19488                        // 000000005D44: D81A4C20 0000E90E
	v_mfma_f32_32x32x16_fp8_fp8 v[80:95], v[196:197], v[180:181], v[80:95]// 000000005D4C: D3F70050 054369C4
	ds_write_b32 v14, v234 offset:21568                        // 000000005D54: D81A5440 0000EA0E
	v_mfma_f32_32x32x16_fp8_fp8 v[80:95], v[198:199], v[182:183], v[80:95]// 000000005D5C: D3F70050 05436DC6
	ds_write_b32 v14, v235 offset:23648                        // 000000005D64: D81A5C60 0000EB0E
	v_mfma_f32_32x32x16_fp8_fp8 v[80:95], v[200:201], v[184:185], v[80:95]// 000000005D6C: D3F70050 054371C8
	v_mfma_f32_32x32x16_fp8_fp8 v[80:95], v[202:203], v[186:187], v[80:95]// 000000005D74: D3F70050 054375CA
	v_mfma_f32_32x32x16_fp8_fp8 v[80:95], v[204:205], v[188:189], v[80:95]// 000000005D7C: D3F70050 054379CC
	s_waitcnt lgkmcnt(0)                                       // 000000005D84: BF8CC07F
	s_barrier                                                  // 000000005D88: BF8A0000
	v_mfma_f32_32x32x16_fp8_fp8 v[80:95], v[206:207], v[190:191], v[80:95]// 000000005D8C: D3F70050 05437DCE
	v_mfma_f32_32x32x16_fp8_fp8 v[96:111], v[208:209], v[176:177], 0// 000000005D94: D3F70060 020361D0
	v_mfma_f32_32x32x16_fp8_fp8 v[96:111], v[210:211], v[178:179], v[96:111]// 000000005D9C: D3F70060 058365D2
	v_mfma_f32_32x32x16_fp8_fp8 v[96:111], v[212:213], v[180:181], v[96:111]// 000000005DA4: D3F70060 058369D4
	v_mfma_f32_32x32x16_fp8_fp8 v[96:111], v[214:215], v[182:183], v[96:111]// 000000005DAC: D3F70060 05836DD6
	v_mfma_f32_32x32x16_fp8_fp8 v[96:111], v[216:217], v[184:185], v[96:111]// 000000005DB4: D3F70060 058371D8
	v_mfma_f32_32x32x16_fp8_fp8 v[96:111], v[218:219], v[186:187], v[96:111]// 000000005DBC: D3F70060 058375DA
	v_mfma_f32_32x32x16_fp8_fp8 v[96:111], v[220:221], v[188:189], v[96:111]// 000000005DC4: D3F70060 058379DC
	v_exp_f32_e32 v48, v48                                     // 000000005DCC: 7E604130
	v_exp_f32_e32 v49, v49                                     // 000000005DD0: 7E624131
	v_exp_f32_e32 v50, v50                                     // 000000005DD4: 7E644132
	v_exp_f32_e32 v51, v51                                     // 000000005DD8: 7E664133
	v_exp_f32_e32 v52, v52                                     // 000000005DDC: 7E684134
	v_exp_f32_e32 v53, v53                                     // 000000005DE0: 7E6A4135
	v_exp_f32_e32 v54, v54                                     // 000000005DE4: 7E6C4136
	v_exp_f32_e32 v55, v55                                     // 000000005DE8: 7E6E4137
	v_exp_f32_e32 v56, v56                                     // 000000005DEC: 7E704138
	v_exp_f32_e32 v57, v57                                     // 000000005DF0: 7E724139
	v_exp_f32_e32 v58, v58                                     // 000000005DF4: 7E74413A
	v_exp_f32_e32 v59, v59                                     // 000000005DF8: 7E76413B
	v_exp_f32_e32 v60, v60                                     // 000000005DFC: 7E78413C
	v_exp_f32_e32 v61, v61                                     // 000000005E00: 7E7A413D
	v_exp_f32_e32 v62, v62                                     // 000000005E04: 7E7C413E
	v_exp_f32_e32 v63, v63                                     // 000000005E08: 7E7E413F
	v_exp_f32_e32 v64, v64                                     // 000000005E0C: 7E804140
	v_exp_f32_e32 v65, v65                                     // 000000005E10: 7E824141
	v_exp_f32_e32 v66, v66                                     // 000000005E14: 7E844142
	v_exp_f32_e32 v67, v67                                     // 000000005E18: 7E864143
	v_exp_f32_e32 v68, v68                                     // 000000005E1C: 7E884144
	v_exp_f32_e32 v69, v69                                     // 000000005E20: 7E8A4145
	v_exp_f32_e32 v70, v70                                     // 000000005E24: 7E8C4146
	v_exp_f32_e32 v71, v71                                     // 000000005E28: 7E8E4147
	v_exp_f32_e32 v72, v72                                     // 000000005E2C: 7E904148
	v_exp_f32_e32 v73, v73                                     // 000000005E30: 7E924149
	v_exp_f32_e32 v74, v74                                     // 000000005E34: 7E94414A
	v_exp_f32_e32 v75, v75                                     // 000000005E38: 7E96414B
	v_exp_f32_e32 v76, v76                                     // 000000005E3C: 7E98414C
	v_exp_f32_e32 v77, v77                                     // 000000005E40: 7E9A414D
	v_exp_f32_e32 v78, v78                                     // 000000005E44: 7E9C414E
	v_exp_f32_e32 v79, v79                                     // 000000005E48: 7E9E414F
	v_mul_f32_e32 v22, v20, v22                                // 000000005E4C: 0A2C2D14
	s_nop 0                                                    // 000000005E50: BF800000
	v_pk_add_f32 v[38:39], v[48:49], v[50:51]                  // 000000005E54: D3B24026 18026530
	v_pk_add_f32 v[38:39], v[52:53], v[38:39]                  // 000000005E5C: D3B24026 18024D34
	v_pk_add_f32 v[38:39], v[54:55], v[38:39]                  // 000000005E64: D3B24026 18024D36
	v_pk_add_f32 v[38:39], v[56:57], v[38:39]                  // 000000005E6C: D3B24026 18024D38
	v_pk_add_f32 v[38:39], v[58:59], v[38:39]                  // 000000005E74: D3B24026 18024D3A
	v_pk_add_f32 v[38:39], v[60:61], v[38:39]                  // 000000005E7C: D3B24026 18024D3C
	v_pk_add_f32 v[38:39], v[62:63], v[38:39]                  // 000000005E84: D3B24026 18024D3E
	v_pk_add_f32 v[38:39], v[64:65], v[38:39]                  // 000000005E8C: D3B24026 18024D40
	v_pk_add_f32 v[38:39], v[66:67], v[38:39]                  // 000000005E94: D3B24026 18024D42
	v_pk_add_f32 v[38:39], v[68:69], v[38:39]                  // 000000005E9C: D3B24026 18024D44
	v_pk_add_f32 v[38:39], v[70:71], v[38:39]                  // 000000005EA4: D3B24026 18024D46
	v_pk_add_f32 v[38:39], v[72:73], v[38:39]                  // 000000005EAC: D3B24026 18024D48
	v_pk_add_f32 v[38:39], v[74:75], v[38:39]                  // 000000005EB4: D3B24026 18024D4A
	v_pk_add_f32 v[38:39], v[76:77], v[38:39]                  // 000000005EBC: D3B24026 18024D4C
	v_pk_add_f32 v[38:39], v[78:79], v[38:39]                  // 000000005EC4: D3B24026 18024D4E
	v_add_f32_e32 v38, v38, v39                                // 000000005ECC: 024C4F26
	v_add_f32_e32 v22, v38, v22                                // 000000005ED0: 022C2D26
	v_cvt_pk_fp8_f32 v48, v48, v49                             // 000000005ED4: D2A20030 00026330
	v_cvt_pk_fp8_f32 v48, v50, v51 op_sel:[0,0,1]              // 000000005EDC: D2A24030 00026732
	v_cvt_pk_fp8_f32 v49, v52, v53                             // 000000005EE4: D2A20031 00026B34
	v_cvt_pk_fp8_f32 v49, v54, v55 op_sel:[0,0,1]              // 000000005EEC: D2A24031 00026F36
	v_cvt_pk_fp8_f32 v50, v56, v57                             // 000000005EF4: D2A20032 00027338
	v_cvt_pk_fp8_f32 v50, v58, v59 op_sel:[0,0,1]              // 000000005EFC: D2A24032 0002773A
	v_cvt_pk_fp8_f32 v51, v60, v61                             // 000000005F04: D2A20033 00027B3C
	v_cvt_pk_fp8_f32 v51, v62, v63 op_sel:[0,0,1]              // 000000005F0C: D2A24033 00027F3E
	v_cvt_pk_fp8_f32 v52, v64, v65                             // 000000005F14: D2A20034 00028340
	v_cvt_pk_fp8_f32 v52, v66, v67 op_sel:[0,0,1]              // 000000005F1C: D2A24034 00028742
	v_cvt_pk_fp8_f32 v53, v68, v69                             // 000000005F24: D2A20035 00028B44
	v_cvt_pk_fp8_f32 v53, v70, v71 op_sel:[0,0,1]              // 000000005F2C: D2A24035 00028F46
	v_cvt_pk_fp8_f32 v54, v72, v73                             // 000000005F34: D2A20036 00029348
	v_cvt_pk_fp8_f32 v54, v74, v75 op_sel:[0,0,1]              // 000000005F3C: D2A24036 0002974A
	v_cvt_pk_fp8_f32 v55, v76, v77                             // 000000005F44: D2A20037 00029B4C
	v_cvt_pk_fp8_f32 v55, v78, v79 op_sel:[0,0,1]              // 000000005F4C: D2A24037 00029F4E
	v_mfma_f32_32x32x16_fp8_fp8 v[96:111], v[222:223], v[190:191], v[96:111]// 000000005F54: D3F70060 05837DDE
	s_barrier                                                  // 000000005F5C: BF8A0000
	s_nop 0                                                    // 000000005F60: BF800000
	s_cmp_lt_i32 s72, s76                                      // 000000005F64: BF044C48
	s_cbranch_scc1 label_099E                                  // 000000005F68: BF850083
	s_sub_i32 s34, s7, s72                                     // 000000005F6C: 81A24807
	v_sub_i32 v16, s34, v30                                    // 000000005F70: D29D0010 00023C22
	v_cmp_lt_i32_e64 s[50:51], 0, v16                          // 000000005F78: D0C10032 00022080
	v_cmp_lt_i32_e64 s[52:53], 1, v16                          // 000000005F80: D0C10034 00022081
	v_cndmask_b32_e64 v80, v31, v80, s[50:51]                  // 000000005F88: D1000050 00CAA11F
	v_cndmask_b32_e64 v81, v31, v81, s[52:53]                  // 000000005F90: D1000051 00D2A31F
	v_cmp_lt_i32_e64 s[50:51], 2, v16                          // 000000005F98: D0C10032 00022082
	v_cmp_lt_i32_e64 s[52:53], 3, v16                          // 000000005FA0: D0C10034 00022083
	v_cndmask_b32_e64 v82, v31, v82, s[50:51]                  // 000000005FA8: D1000052 00CAA51F
	v_cndmask_b32_e64 v83, v31, v83, s[52:53]                  // 000000005FB0: D1000053 00D2A71F
	v_cmp_lt_i32_e64 s[50:51], 8, v16                          // 000000005FB8: D0C10032 00022088
	v_cmp_lt_i32_e64 s[52:53], 9, v16                          // 000000005FC0: D0C10034 00022089
	v_cndmask_b32_e64 v84, v31, v84, s[50:51]                  // 000000005FC8: D1000054 00CAA91F
	v_cndmask_b32_e64 v85, v31, v85, s[52:53]                  // 000000005FD0: D1000055 00D2AB1F
	v_cmp_lt_i32_e64 s[50:51], 10, v16                         // 000000005FD8: D0C10032 0002208A
	v_cmp_lt_i32_e64 s[52:53], 11, v16                         // 000000005FE0: D0C10034 0002208B
	v_cndmask_b32_e64 v86, v31, v86, s[50:51]                  // 000000005FE8: D1000056 00CAAD1F
	v_cndmask_b32_e64 v87, v31, v87, s[52:53]                  // 000000005FF0: D1000057 00D2AF1F
	v_cmp_lt_i32_e64 s[50:51], 16, v16                         // 000000005FF8: D0C10032 00022090
	v_cmp_lt_i32_e64 s[52:53], 17, v16                         // 000000006000: D0C10034 00022091
	v_cndmask_b32_e64 v88, v31, v88, s[50:51]                  // 000000006008: D1000058 00CAB11F
	v_cndmask_b32_e64 v89, v31, v89, s[52:53]                  // 000000006010: D1000059 00D2B31F
	v_cmp_lt_i32_e64 s[50:51], 18, v16                         // 000000006018: D0C10032 00022092
	v_cmp_lt_i32_e64 s[52:53], 19, v16                         // 000000006020: D0C10034 00022093
	v_cndmask_b32_e64 v90, v31, v90, s[50:51]                  // 000000006028: D100005A 00CAB51F
	v_cndmask_b32_e64 v91, v31, v91, s[52:53]                  // 000000006030: D100005B 00D2B71F
	v_cmp_lt_i32_e64 s[50:51], 24, v16                         // 000000006038: D0C10032 00022098
	v_cmp_lt_i32_e64 s[52:53], 25, v16                         // 000000006040: D0C10034 00022099
	v_cndmask_b32_e64 v92, v31, v92, s[50:51]                  // 000000006048: D100005C 00CAB91F
	v_cndmask_b32_e64 v93, v31, v93, s[52:53]                  // 000000006050: D100005D 00D2BB1F
	v_cmp_lt_i32_e64 s[50:51], 26, v16                         // 000000006058: D0C10032 0002209A
	v_cmp_lt_i32_e64 s[52:53], 27, v16                         // 000000006060: D0C10034 0002209B
	v_cndmask_b32_e64 v94, v31, v94, s[50:51]                  // 000000006068: D100005E 00CABD1F
	v_cndmask_b32_e64 v95, v31, v95, s[52:53]                  // 000000006070: D100005F 00D2BF1F
	v_cmp_lt_i32_e64 s[50:51], 32, v16                         // 000000006078: D0C10032 000220A0
	v_cmp_lt_i32_e64 s[52:53], 33, v16                         // 000000006080: D0C10034 000220A1
	v_cndmask_b32_e64 v96, v31, v96, s[50:51]                  // 000000006088: D1000060 00CAC11F
	v_cndmask_b32_e64 v97, v31, v97, s[52:53]                  // 000000006090: D1000061 00D2C31F
	v_cmp_lt_i32_e64 s[50:51], 34, v16                         // 000000006098: D0C10032 000220A2
	v_cmp_lt_i32_e64 s[52:53], 35, v16                         // 0000000060A0: D0C10034 000220A3
	v_cndmask_b32_e64 v98, v31, v98, s[50:51]                  // 0000000060A8: D1000062 00CAC51F
	v_cndmask_b32_e64 v99, v31, v99, s[52:53]                  // 0000000060B0: D1000063 00D2C71F
	v_cmp_lt_i32_e64 s[50:51], 40, v16                         // 0000000060B8: D0C10032 000220A8
	v_cmp_lt_i32_e64 s[52:53], 41, v16                         // 0000000060C0: D0C10034 000220A9
	v_cndmask_b32_e64 v100, v31, v100, s[50:51]                // 0000000060C8: D1000064 00CAC91F
	v_cndmask_b32_e64 v101, v31, v101, s[52:53]                // 0000000060D0: D1000065 00D2CB1F
	v_cmp_lt_i32_e64 s[50:51], 42, v16                         // 0000000060D8: D0C10032 000220AA
	v_cmp_lt_i32_e64 s[52:53], 43, v16                         // 0000000060E0: D0C10034 000220AB
	v_cndmask_b32_e64 v102, v31, v102, s[50:51]                // 0000000060E8: D1000066 00CACD1F
	v_cndmask_b32_e64 v103, v31, v103, s[52:53]                // 0000000060F0: D1000067 00D2CF1F
	v_cmp_lt_i32_e64 s[50:51], 48, v16                         // 0000000060F8: D0C10032 000220B0
	v_cmp_lt_i32_e64 s[52:53], 49, v16                         // 000000006100: D0C10034 000220B1
	v_cndmask_b32_e64 v104, v31, v104, s[50:51]                // 000000006108: D1000068 00CAD11F
	v_cndmask_b32_e64 v105, v31, v105, s[52:53]                // 000000006110: D1000069 00D2D31F
	v_cmp_lt_i32_e64 s[50:51], 50, v16                         // 000000006118: D0C10032 000220B2
	v_cmp_lt_i32_e64 s[52:53], 51, v16                         // 000000006120: D0C10034 000220B3
	v_cndmask_b32_e64 v106, v31, v106, s[50:51]                // 000000006128: D100006A 00CAD51F
	v_cndmask_b32_e64 v107, v31, v107, s[52:53]                // 000000006130: D100006B 00D2D71F
	v_cmp_lt_i32_e64 s[50:51], 56, v16                         // 000000006138: D0C10032 000220B8
	v_cmp_lt_i32_e64 s[52:53], 57, v16                         // 000000006140: D0C10034 000220B9
	v_cndmask_b32_e64 v108, v31, v108, s[50:51]                // 000000006148: D100006C 00CAD91F
	v_cndmask_b32_e64 v109, v31, v109, s[52:53]                // 000000006150: D100006D 00D2DB1F
	v_cmp_lt_i32_e64 s[50:51], 58, v16                         // 000000006158: D0C10032 000220BA
	v_cmp_lt_i32_e64 s[52:53], 59, v16                         // 000000006160: D0C10034 000220BB
	v_cndmask_b32_e64 v110, v31, v110, s[50:51]                // 000000006168: D100006E 00CADD1F
	v_cndmask_b32_e64 v111, v31, v111, s[52:53]                // 000000006170: D100006F 00D2DF1F

0000000000006178 <label_099E>:
	s_mov_b32 m0, s55                                          // 000000006178: BEFC0037
	buffer_load_dword v4, s[12:15], s57 offen lds              // 00000000617C: E0511000 39030004
	s_add_u32 m0, 0x880, m0                                    // 000000006184: 807C7CFF 00000880
	buffer_load_dword v5, s[12:15], s57 offen lds              // 00000000618C: E0511000 39030005
	s_add_u32 m0, 0x880, m0                                    // 000000006194: 807C7CFF 00000880
	buffer_load_dword v6, s[12:15], s57 offen lds              // 00000000619C: E0511000 39030006
	s_add_u32 m0, 0x880, m0                                    // 0000000061A4: 807C7CFF 00000880
	buffer_load_dword v7, s[12:15], s57 offen lds              // 0000000061AC: E0511000 39030007
	s_add_u32 m0, 0x880, m0                                    // 0000000061B4: 807C7CFF 00000880
	s_add_i32 s57, s64, s57                                    // 0000000061BC: 81393940
	s_add_u32 s34, 0x100, s63                                  // 0000000061C0: 80223FFF 00000100
	s_nop 0                                                    // 0000000061C8: BF800000
	s_cmp_lt_u32 s34, s62                                      // 0000000061CC: BF0A3E22
	s_cselect_b32 s64, s64, 0                                  // 0000000061D0: 85408040
	s_nop 7                                                    // 0000000061D4: BF800007
	ds_read_b32 v192, v13 offset:17408                         // 0000000061D8: D86C4400 C000000D
	ds_read_b32 v193, v13 offset:17664                         // 0000000061E0: D86C4500 C100000D
	ds_read_b32 v194, v13 offset:17920                         // 0000000061E8: D86C4600 C200000D
	ds_read_b32 v195, v13 offset:18176                         // 0000000061F0: D86C4700 C300000D
	ds_read_b32 v196, v13 offset:18432                         // 0000000061F8: D86C4800 C400000D
	ds_read_b32 v197, v13 offset:18688                         // 000000006200: D86C4900 C500000D
	ds_read_b32 v198, v13 offset:18944                         // 000000006208: D86C4A00 C600000D
	ds_read_b32 v199, v13 offset:19200                         // 000000006210: D86C4B00 C700000D
	ds_read_b32 v200, v13 offset:17440                         // 000000006218: D86C4420 C800000D
	ds_read_b32 v201, v13 offset:17696                         // 000000006220: D86C4520 C900000D
	ds_read_b32 v202, v13 offset:17952                         // 000000006228: D86C4620 CA00000D
	ds_read_b32 v203, v13 offset:18208                         // 000000006230: D86C4720 CB00000D
	ds_read_b32 v204, v13 offset:18464                         // 000000006238: D86C4820 CC00000D
	ds_read_b32 v205, v13 offset:18720                         // 000000006240: D86C4920 CD00000D
	ds_read_b32 v206, v13 offset:18976                         // 000000006248: D86C4A20 CE00000D
	ds_read_b32 v207, v13 offset:19232                         // 000000006250: D86C4B20 CF00000D
	ds_read_b32 v208, v13 offset:17472                         // 000000006258: D86C4440 D000000D
	ds_read_b32 v209, v13 offset:17728                         // 000000006260: D86C4540 D100000D
	ds_read_b32 v210, v13 offset:17984                         // 000000006268: D86C4640 D200000D
	ds_read_b32 v211, v13 offset:18240                         // 000000006270: D86C4740 D300000D
	ds_read_b32 v212, v13 offset:18496                         // 000000006278: D86C4840 D400000D
	ds_read_b32 v213, v13 offset:18752                         // 000000006280: D86C4940 D500000D
	ds_read_b32 v214, v13 offset:19008                         // 000000006288: D86C4A40 D600000D
	ds_read_b32 v215, v13 offset:19264                         // 000000006290: D86C4B40 D700000D
	ds_read_b32 v216, v13 offset:17504                         // 000000006298: D86C4460 D800000D
	ds_read_b32 v217, v13 offset:17760                         // 0000000062A0: D86C4560 D900000D
	ds_read_b32 v218, v13 offset:18016                         // 0000000062A8: D86C4660 DA00000D
	ds_read_b32 v219, v13 offset:18272                         // 0000000062B0: D86C4760 DB00000D
	ds_read_b32 v220, v13 offset:18528                         // 0000000062B8: D86C4860 DC00000D
	ds_read_b32 v221, v13 offset:18784                         // 0000000062C0: D86C4960 DD00000D
	ds_read_b32 v222, v13 offset:19040                         // 0000000062C8: D86C4A60 DE00000D
	ds_read_b32 v223, v13 offset:19296                         // 0000000062D0: D86C4B60 DF00000D
	s_add_i32 s72, s72, s73                                    // 0000000062D8: 81484948
	s_addk_i32 s63, 0x40                                       // 0000000062DC: B73F0040
	s_cmp_lt_i32 s63, s62                                      // 0000000062E0: BF043E3F
	s_waitcnt vmcnt(8) lgkmcnt(0)                              // 0000000062E4: BF8C0078
	s_barrier                                                  // 0000000062E8: BF8A0000
	s_nop 0                                                    // 0000000062EC: BF800000
	v_max3_f32 v25, v80, v81, v28                              // 0000000062F0: D1D30019 0472A350
	v_max3_f32 v25, v82, v83, v25                              // 0000000062F8: D1D30019 0466A752
	v_max3_f32 v25, v84, v85, v25                              // 000000006300: D1D30019 0466AB54
	v_max3_f32 v25, v86, v87, v25                              // 000000006308: D1D30019 0466AF56
	v_max3_f32 v25, v88, v89, v25                              // 000000006310: D1D30019 0466B358
	v_max3_f32 v25, v90, v91, v25                              // 000000006318: D1D30019 0466B75A
	v_max3_f32 v25, v92, v93, v25                              // 000000006320: D1D30019 0466BB5C
	v_max3_f32 v25, v94, v95, v25                              // 000000006328: D1D30019 0466BF5E
	v_max3_f32 v25, v96, v97, v25                              // 000000006330: D1D30019 0466C360
	v_max3_f32 v25, v98, v99, v25                              // 000000006338: D1D30019 0466C762
	v_max3_f32 v25, v100, v101, v25                            // 000000006340: D1D30019 0466CB64
	v_max3_f32 v25, v102, v103, v25                            // 000000006348: D1D30019 0466CF66
	v_max3_f32 v25, v104, v105, v25                            // 000000006350: D1D30019 0466D368
	v_max3_f32 v25, v106, v107, v25                            // 000000006358: D1D30019 0466D76A
	v_max3_f32 v25, v108, v109, v25                            // 000000006360: D1D30019 0466DB6C
	v_max3_f32 v25, v110, v111, v25                            // 000000006368: D1D30019 0466DF6E
	v_mfma_f32_32x32x16_fp8_fp8 v[112:127], v[192:193], v[48:49], v[112:127]// 000000006370: D3F70070 05C261C0
	ds_permute_b32 v24, v32, v25                               // 000000006378: D87C0000 18001920
	v_mfma_f32_32x32x16_fp8_fp8 v[112:127], v[194:195], v[50:51], v[112:127]// 000000006380: D3F70070 05C265C2
	v_mfma_f32_32x32x16_fp8_fp8 v[112:127], v[196:197], v[52:53], v[112:127]// 000000006388: D3F70070 05C269C4
	v_mfma_f32_32x32x16_fp8_fp8 v[112:127], v[198:199], v[54:55], v[112:127]// 000000006390: D3F70070 05C26DC6
	v_mfma_f32_32x32x16_fp8_fp8 v[128:143], v[200:201], v[48:49], v[128:143]// 000000006398: D3F70080 060261C8
	v_mfma_f32_32x32x16_fp8_fp8 v[128:143], v[202:203], v[50:51], v[128:143]// 0000000063A0: D3F70080 060265CA
	v_mfma_f32_32x32x16_fp8_fp8 v[128:143], v[204:205], v[52:53], v[128:143]// 0000000063A8: D3F70080 060269CC
	v_mfma_f32_32x32x16_fp8_fp8 v[128:143], v[206:207], v[54:55], v[128:143]// 0000000063B0: D3F70080 06026DCE
	v_mfma_f32_32x32x16_fp8_fp8 v[144:159], v[208:209], v[48:49], v[144:159]// 0000000063B8: D3F70090 064261D0
	s_waitcnt lgkmcnt(0)                                       // 0000000063C0: BF8CC07F
	v_mfma_f32_32x32x16_fp8_fp8 v[144:159], v[210:211], v[50:51], v[144:159]// 0000000063C4: D3F70090 064265D2
	v_mfma_f32_32x32x16_fp8_fp8 v[144:159], v[212:213], v[52:53], v[144:159]// 0000000063CC: D3F70090 064269D4
	v_mfma_f32_32x32x16_fp8_fp8 v[144:159], v[214:215], v[54:55], v[144:159]// 0000000063D4: D3F70090 06426DD6
	v_mfma_f32_32x32x16_fp8_fp8 v[160:175], v[216:217], v[48:49], v[160:175]// 0000000063DC: D3F700A0 068261D8
	v_mfma_f32_32x32x16_fp8_fp8 v[160:175], v[218:219], v[50:51], v[160:175]// 0000000063E4: D3F700A0 068265DA
	v_mfma_f32_32x32x16_fp8_fp8 v[160:175], v[220:221], v[52:53], v[160:175]// 0000000063EC: D3F700A0 068269DC
	v_mfma_f32_32x32x16_fp8_fp8 v[160:175], v[222:223], v[54:55], v[160:175]// 0000000063F4: D3F700A0 06826DDE
	v_max_f32_e32 v25, v24, v25                                // 0000000063FC: 16323318
	v_sub_f32_e32 v20, v28, v25                                // 000000006400: 0428331C
	v_mov_b32_e32 v28, v25                                     // 000000006404: 7E380319
	v_mul_f32_e32 v27, s74, v25                                // 000000006408: 0A36324A
	v_mul_f32_e32 v20, s74, v20                                // 00000000640C: 0A28284A
	v_exp_f32_e32 v20, v20                                     // 000000006410: 7E284114
	v_add_f32_e64 v36, 0, -v27                                 // 000000006414: D1010024 40023680
	v_mov_b32_e32 v37, v36                                     // 00000000641C: 7E4A0324
	v_pk_fma_f32 v[80:81], v[80:81], s[74:75], v[36:37]        // 000000006420: D3B04050 1C909550
	v_pk_fma_f32 v[82:83], v[82:83], s[74:75], v[36:37]        // 000000006428: D3B04052 1C909552
	v_pk_fma_f32 v[84:85], v[84:85], s[74:75], v[36:37]        // 000000006430: D3B04054 1C909554
	v_pk_fma_f32 v[86:87], v[86:87], s[74:75], v[36:37]        // 000000006438: D3B04056 1C909556
	v_pk_fma_f32 v[88:89], v[88:89], s[74:75], v[36:37]        // 000000006440: D3B04058 1C909558
	v_pk_fma_f32 v[90:91], v[90:91], s[74:75], v[36:37]        // 000000006448: D3B0405A 1C90955A
	v_pk_fma_f32 v[92:93], v[92:93], s[74:75], v[36:37]        // 000000006450: D3B0405C 1C90955C
	v_pk_fma_f32 v[94:95], v[94:95], s[74:75], v[36:37]        // 000000006458: D3B0405E 1C90955E
	v_pk_fma_f32 v[96:97], v[96:97], s[74:75], v[36:37]        // 000000006460: D3B04060 1C909560
	v_pk_fma_f32 v[98:99], v[98:99], s[74:75], v[36:37]        // 000000006468: D3B04062 1C909562
	v_pk_fma_f32 v[100:101], v[100:101], s[74:75], v[36:37]    // 000000006470: D3B04064 1C909564
	v_pk_fma_f32 v[102:103], v[102:103], s[74:75], v[36:37]    // 000000006478: D3B04066 1C909566
	v_pk_fma_f32 v[104:105], v[104:105], s[74:75], v[36:37]    // 000000006480: D3B04068 1C909568
	v_pk_fma_f32 v[106:107], v[106:107], s[74:75], v[36:37]    // 000000006488: D3B0406A 1C90956A
	v_pk_fma_f32 v[108:109], v[108:109], s[74:75], v[36:37]    // 000000006490: D3B0406C 1C90956C
	v_pk_fma_f32 v[110:111], v[110:111], s[74:75], v[36:37]    // 000000006498: D3B0406E 1C90956E
	s_nop 0                                                    // 0000000064A0: BF800000
	v_mov_b32_e32 v21, v20                                     // 0000000064A4: 7E2A0314
	v_mul_f32_e32 v112, v20, v112                              // 0000000064A8: 0AE0E114
	v_mul_f32_e32 v113, v20, v113                              // 0000000064AC: 0AE2E314
	v_pk_mul_f32 v[114:115], v[20:21], v[114:115]              // 0000000064B0: D3B14072 1802E514
	v_pk_mul_f32 v[116:117], v[20:21], v[116:117]              // 0000000064B8: D3B14074 1802E914
	v_pk_mul_f32 v[118:119], v[20:21], v[118:119]              // 0000000064C0: D3B14076 1802ED14
	v_pk_mul_f32 v[120:121], v[20:21], v[120:121]              // 0000000064C8: D3B14078 1802F114
	v_pk_mul_f32 v[122:123], v[20:21], v[122:123]              // 0000000064D0: D3B1407A 1802F514
	v_pk_mul_f32 v[124:125], v[20:21], v[124:125]              // 0000000064D8: D3B1407C 1802F914
	v_pk_mul_f32 v[126:127], v[20:21], v[126:127]              // 0000000064E0: D3B1407E 1802FD14
	v_pk_mul_f32 v[128:129], v[20:21], v[128:129]              // 0000000064E8: D3B14080 18030114
	v_pk_mul_f32 v[130:131], v[20:21], v[130:131]              // 0000000064F0: D3B14082 18030514
	v_pk_mul_f32 v[132:133], v[20:21], v[132:133]              // 0000000064F8: D3B14084 18030914
	v_pk_mul_f32 v[134:135], v[20:21], v[134:135]              // 000000006500: D3B14086 18030D14
	v_pk_mul_f32 v[136:137], v[20:21], v[136:137]              // 000000006508: D3B14088 18031114
	v_pk_mul_f32 v[138:139], v[20:21], v[138:139]              // 000000006510: D3B1408A 18031514
	v_pk_mul_f32 v[140:141], v[20:21], v[140:141]              // 000000006518: D3B1408C 18031914
	v_pk_mul_f32 v[142:143], v[20:21], v[142:143]              // 000000006520: D3B1408E 18031D14
	v_pk_mul_f32 v[144:145], v[20:21], v[144:145]              // 000000006528: D3B14090 18032114
	v_pk_mul_f32 v[146:147], v[20:21], v[146:147]              // 000000006530: D3B14092 18032514
	v_pk_mul_f32 v[148:149], v[20:21], v[148:149]              // 000000006538: D3B14094 18032914
	v_pk_mul_f32 v[150:151], v[20:21], v[150:151]              // 000000006540: D3B14096 18032D14
	v_pk_mul_f32 v[152:153], v[20:21], v[152:153]              // 000000006548: D3B14098 18033114
	v_pk_mul_f32 v[154:155], v[20:21], v[154:155]              // 000000006550: D3B1409A 18033514
	v_pk_mul_f32 v[156:157], v[20:21], v[156:157]              // 000000006558: D3B1409C 18033914
	v_pk_mul_f32 v[158:159], v[20:21], v[158:159]              // 000000006560: D3B1409E 18033D14
	v_pk_mul_f32 v[160:161], v[20:21], v[160:161]              // 000000006568: D3B140A0 18034114
	v_pk_mul_f32 v[162:163], v[20:21], v[162:163]              // 000000006570: D3B140A2 18034514
	v_pk_mul_f32 v[164:165], v[20:21], v[164:165]              // 000000006578: D3B140A4 18034914
	v_pk_mul_f32 v[166:167], v[20:21], v[166:167]              // 000000006580: D3B140A6 18034D14
	v_pk_mul_f32 v[168:169], v[20:21], v[168:169]              // 000000006588: D3B140A8 18035114
	v_pk_mul_f32 v[170:171], v[20:21], v[170:171]              // 000000006590: D3B140AA 18035514
	v_pk_mul_f32 v[172:173], v[20:21], v[172:173]              // 000000006598: D3B140AC 18035914
	v_pk_mul_f32 v[174:175], v[20:21], v[174:175]              // 0000000065A0: D3B140AE 18035D14
	s_cbranch_scc0 label_0CFD                                  // 0000000065A8: BF840252
	buffer_load_dword v224, v8, s[16:19], s32 offen            // 0000000065AC: E0501000 2004E008
	buffer_load_dword v225, v9, s[16:19], s32 offen            // 0000000065B4: E0501000 2004E109
	buffer_load_dword v226, v10, s[16:19], s32 offen           // 0000000065BC: E0501000 2004E20A
	buffer_load_dword v227, v11, s[16:19], s32 offen           // 0000000065C4: E0501000 2004E30B
	s_add_i32 s32, s65, s32                                    // 0000000065CC: 81202041
	s_add_u32 s34, 0x80, s63                                   // 0000000065D0: 80223FFF 00000080
	s_nop 0                                                    // 0000000065D8: BF800000
	s_cmp_lt_u32 s34, s62                                      // 0000000065DC: BF0A3E22
	s_cselect_b32 s65, s65, 0                                  // 0000000065E0: 85418041
	ds_read_b128 v[192:195], v12                               // 0000000065E4: D9FE0000 C000000C
	ds_read_b128 v[196:199], v12 offset:32                     // 0000000065EC: D9FE0020 C400000C
	ds_read_b128 v[200:203], v12 offset:64                     // 0000000065F4: D9FE0040 C800000C
	ds_read_b128 v[204:207], v12 offset:96                     // 0000000065FC: D9FE0060 CC00000C
	ds_read_b128 v[208:211], v12 offset:4352                   // 000000006604: D9FE1100 D000000C
	ds_read_b128 v[212:215], v12 offset:4384                   // 00000000660C: D9FE1120 D400000C
	ds_read_b128 v[216:219], v12 offset:4416                   // 000000006614: D9FE1140 D800000C
	ds_read_b128 v[220:223], v12 offset:4448                   // 00000000661C: D9FE1160 DC00000C
	s_waitcnt vmcnt(8) lgkmcnt(0)                              // 000000006624: BF8C0078
	s_barrier                                                  // 000000006628: BF8A0000
	s_barrier                                                  // 00000000662C: BF8A0000
	v_perm_b32 v16, v229, v228, s69                            // 000000006630: D1ED0010 0117C9E5
	v_perm_b32 v17, v229, v228, s70                            // 000000006638: D1ED0011 011BC9E5
	v_perm_b32 v18, v231, v230, s69                            // 000000006640: D1ED0012 0117CDE7
	v_perm_b32 v19, v231, v230, s70                            // 000000006648: D1ED0013 011BCDE7
	v_perm_b32 v232, v18, v16, s68                             // 000000006650: D1ED00E8 01122112
	v_perm_b32 v233, v18, v16, s67                             // 000000006658: D1ED00E9 010E2112
	v_perm_b32 v234, v19, v17, s68                             // 000000006660: D1ED00EA 01122313
	v_perm_b32 v235, v19, v17, s67                             // 000000006668: D1ED00EB 010E2313
	v_mfma_f32_32x32x16_fp8_fp8 v[48:63], v[192:193], v[176:177], 0// 000000006670: D3F70030 020361C0
	ds_write_b32 v14, v232 offset:17408                        // 000000006678: D81A4400 0000E80E
	v_mfma_f32_32x32x16_fp8_fp8 v[48:63], v[194:195], v[178:179], v[48:63]// 000000006680: D3F70030 04C365C2
	ds_write_b32 v14, v233 offset:19488                        // 000000006688: D81A4C20 0000E90E
	v_mfma_f32_32x32x16_fp8_fp8 v[48:63], v[196:197], v[180:181], v[48:63]// 000000006690: D3F70030 04C369C4
	ds_write_b32 v14, v234 offset:21568                        // 000000006698: D81A5440 0000EA0E
	v_mfma_f32_32x32x16_fp8_fp8 v[48:63], v[198:199], v[182:183], v[48:63]// 0000000066A0: D3F70030 04C36DC6
	ds_write_b32 v14, v235 offset:23648                        // 0000000066A8: D81A5C60 0000EB0E
	v_mfma_f32_32x32x16_fp8_fp8 v[48:63], v[200:201], v[184:185], v[48:63]// 0000000066B0: D3F70030 04C371C8
	v_mfma_f32_32x32x16_fp8_fp8 v[48:63], v[202:203], v[186:187], v[48:63]// 0000000066B8: D3F70030 04C375CA
	v_mfma_f32_32x32x16_fp8_fp8 v[48:63], v[204:205], v[188:189], v[48:63]// 0000000066C0: D3F70030 04C379CC
	s_waitcnt lgkmcnt(0)                                       // 0000000066C8: BF8CC07F
	s_barrier                                                  // 0000000066CC: BF8A0000
	v_mfma_f32_32x32x16_fp8_fp8 v[48:63], v[206:207], v[190:191], v[48:63]// 0000000066D0: D3F70030 04C37DCE
	v_mfma_f32_32x32x16_fp8_fp8 v[64:79], v[208:209], v[176:177], 0// 0000000066D8: D3F70040 020361D0
	v_mfma_f32_32x32x16_fp8_fp8 v[64:79], v[210:211], v[178:179], v[64:79]// 0000000066E0: D3F70040 050365D2
	v_mfma_f32_32x32x16_fp8_fp8 v[64:79], v[212:213], v[180:181], v[64:79]// 0000000066E8: D3F70040 050369D4
	v_mfma_f32_32x32x16_fp8_fp8 v[64:79], v[214:215], v[182:183], v[64:79]// 0000000066F0: D3F70040 05036DD6
	v_mfma_f32_32x32x16_fp8_fp8 v[64:79], v[216:217], v[184:185], v[64:79]// 0000000066F8: D3F70040 050371D8
	v_mfma_f32_32x32x16_fp8_fp8 v[64:79], v[218:219], v[186:187], v[64:79]// 000000006700: D3F70040 050375DA
	v_mfma_f32_32x32x16_fp8_fp8 v[64:79], v[220:221], v[188:189], v[64:79]// 000000006708: D3F70040 050379DC
	v_exp_f32_e32 v80, v80                                     // 000000006710: 7EA04150
	v_exp_f32_e32 v81, v81                                     // 000000006714: 7EA24151
	v_exp_f32_e32 v82, v82                                     // 000000006718: 7EA44152
	v_exp_f32_e32 v83, v83                                     // 00000000671C: 7EA64153
	v_exp_f32_e32 v84, v84                                     // 000000006720: 7EA84154
	v_exp_f32_e32 v85, v85                                     // 000000006724: 7EAA4155
	v_exp_f32_e32 v86, v86                                     // 000000006728: 7EAC4156
	v_exp_f32_e32 v87, v87                                     // 00000000672C: 7EAE4157
	v_exp_f32_e32 v88, v88                                     // 000000006730: 7EB04158
	v_exp_f32_e32 v89, v89                                     // 000000006734: 7EB24159
	v_exp_f32_e32 v90, v90                                     // 000000006738: 7EB4415A
	v_exp_f32_e32 v91, v91                                     // 00000000673C: 7EB6415B
	v_exp_f32_e32 v92, v92                                     // 000000006740: 7EB8415C
	v_exp_f32_e32 v93, v93                                     // 000000006744: 7EBA415D
	v_exp_f32_e32 v94, v94                                     // 000000006748: 7EBC415E
	v_exp_f32_e32 v95, v95                                     // 00000000674C: 7EBE415F
	v_exp_f32_e32 v96, v96                                     // 000000006750: 7EC04160
	v_exp_f32_e32 v97, v97                                     // 000000006754: 7EC24161
	v_exp_f32_e32 v98, v98                                     // 000000006758: 7EC44162
	v_exp_f32_e32 v99, v99                                     // 00000000675C: 7EC64163
	v_exp_f32_e32 v100, v100                                   // 000000006760: 7EC84164
	v_exp_f32_e32 v101, v101                                   // 000000006764: 7ECA4165
	v_exp_f32_e32 v102, v102                                   // 000000006768: 7ECC4166
	v_exp_f32_e32 v103, v103                                   // 00000000676C: 7ECE4167
	v_exp_f32_e32 v104, v104                                   // 000000006770: 7ED04168
	v_exp_f32_e32 v105, v105                                   // 000000006774: 7ED24169
	v_exp_f32_e32 v106, v106                                   // 000000006778: 7ED4416A
	v_exp_f32_e32 v107, v107                                   // 00000000677C: 7ED6416B
	v_exp_f32_e32 v108, v108                                   // 000000006780: 7ED8416C
	v_exp_f32_e32 v109, v109                                   // 000000006784: 7EDA416D
	v_exp_f32_e32 v110, v110                                   // 000000006788: 7EDC416E
	v_exp_f32_e32 v111, v111                                   // 00000000678C: 7EDE416F
	v_mul_f32_e32 v22, v20, v22                                // 000000006790: 0A2C2D14
	s_nop 0                                                    // 000000006794: BF800000
	v_pk_add_f32 v[38:39], v[80:81], v[82:83]                  // 000000006798: D3B24026 1802A550
	v_pk_add_f32 v[38:39], v[84:85], v[38:39]                  // 0000000067A0: D3B24026 18024D54
	v_pk_add_f32 v[38:39], v[86:87], v[38:39]                  // 0000000067A8: D3B24026 18024D56
	v_pk_add_f32 v[38:39], v[88:89], v[38:39]                  // 0000000067B0: D3B24026 18024D58
	v_pk_add_f32 v[38:39], v[90:91], v[38:39]                  // 0000000067B8: D3B24026 18024D5A
	v_pk_add_f32 v[38:39], v[92:93], v[38:39]                  // 0000000067C0: D3B24026 18024D5C
	v_pk_add_f32 v[38:39], v[94:95], v[38:39]                  // 0000000067C8: D3B24026 18024D5E
	v_pk_add_f32 v[38:39], v[96:97], v[38:39]                  // 0000000067D0: D3B24026 18024D60
	v_pk_add_f32 v[38:39], v[98:99], v[38:39]                  // 0000000067D8: D3B24026 18024D62
	v_pk_add_f32 v[38:39], v[100:101], v[38:39]                // 0000000067E0: D3B24026 18024D64
	v_pk_add_f32 v[38:39], v[102:103], v[38:39]                // 0000000067E8: D3B24026 18024D66
	v_pk_add_f32 v[38:39], v[104:105], v[38:39]                // 0000000067F0: D3B24026 18024D68
	v_pk_add_f32 v[38:39], v[106:107], v[38:39]                // 0000000067F8: D3B24026 18024D6A
	v_pk_add_f32 v[38:39], v[108:109], v[38:39]                // 000000006800: D3B24026 18024D6C
	v_pk_add_f32 v[38:39], v[110:111], v[38:39]                // 000000006808: D3B24026 18024D6E
	v_add_f32_e32 v38, v38, v39                                // 000000006810: 024C4F26
	v_add_f32_e32 v22, v38, v22                                // 000000006814: 022C2D26
	v_cvt_pk_fp8_f32 v80, v80, v81                             // 000000006818: D2A20050 0002A350
	v_cvt_pk_fp8_f32 v80, v82, v83 op_sel:[0,0,1]              // 000000006820: D2A24050 0002A752
	v_cvt_pk_fp8_f32 v81, v84, v85                             // 000000006828: D2A20051 0002AB54
	v_cvt_pk_fp8_f32 v81, v86, v87 op_sel:[0,0,1]              // 000000006830: D2A24051 0002AF56
	v_cvt_pk_fp8_f32 v82, v88, v89                             // 000000006838: D2A20052 0002B358
	v_cvt_pk_fp8_f32 v82, v90, v91 op_sel:[0,0,1]              // 000000006840: D2A24052 0002B75A
	v_cvt_pk_fp8_f32 v83, v92, v93                             // 000000006848: D2A20053 0002BB5C
	v_cvt_pk_fp8_f32 v83, v94, v95 op_sel:[0,0,1]              // 000000006850: D2A24053 0002BF5E
	v_cvt_pk_fp8_f32 v84, v96, v97                             // 000000006858: D2A20054 0002C360
	v_cvt_pk_fp8_f32 v84, v98, v99 op_sel:[0,0,1]              // 000000006860: D2A24054 0002C762
	v_cvt_pk_fp8_f32 v85, v100, v101                           // 000000006868: D2A20055 0002CB64
	v_cvt_pk_fp8_f32 v85, v102, v103 op_sel:[0,0,1]            // 000000006870: D2A24055 0002CF66
	v_cvt_pk_fp8_f32 v86, v104, v105                           // 000000006878: D2A20056 0002D368
	v_cvt_pk_fp8_f32 v86, v106, v107 op_sel:[0,0,1]            // 000000006880: D2A24056 0002D76A
	v_cvt_pk_fp8_f32 v87, v108, v109                           // 000000006888: D2A20057 0002DB6C
	v_cvt_pk_fp8_f32 v87, v110, v111 op_sel:[0,0,1]            // 000000006890: D2A24057 0002DF6E
	v_mfma_f32_32x32x16_fp8_fp8 v[64:79], v[222:223], v[190:191], v[64:79]// 000000006898: D3F70040 05037DDE
	s_barrier                                                  // 0000000068A0: BF8A0000
	s_nop 0                                                    // 0000000068A4: BF800000
	s_cmp_lt_i32 s72, s76                                      // 0000000068A8: BF044C48
	s_cbranch_scc1 label_0BEF                                  // 0000000068AC: BF850083
	s_sub_i32 s34, s7, s72                                     // 0000000068B0: 81A24807
	v_sub_i32 v16, s34, v30                                    // 0000000068B4: D29D0010 00023C22
	v_cmp_lt_i32_e64 s[50:51], 0, v16                          // 0000000068BC: D0C10032 00022080
	v_cmp_lt_i32_e64 s[52:53], 1, v16                          // 0000000068C4: D0C10034 00022081
	v_cndmask_b32_e64 v48, v31, v48, s[50:51]                  // 0000000068CC: D1000030 00CA611F
	v_cndmask_b32_e64 v49, v31, v49, s[52:53]                  // 0000000068D4: D1000031 00D2631F
	v_cmp_lt_i32_e64 s[50:51], 2, v16                          // 0000000068DC: D0C10032 00022082
	v_cmp_lt_i32_e64 s[52:53], 3, v16                          // 0000000068E4: D0C10034 00022083
	v_cndmask_b32_e64 v50, v31, v50, s[50:51]                  // 0000000068EC: D1000032 00CA651F
	v_cndmask_b32_e64 v51, v31, v51, s[52:53]                  // 0000000068F4: D1000033 00D2671F
	v_cmp_lt_i32_e64 s[50:51], 8, v16                          // 0000000068FC: D0C10032 00022088
	v_cmp_lt_i32_e64 s[52:53], 9, v16                          // 000000006904: D0C10034 00022089
	v_cndmask_b32_e64 v52, v31, v52, s[50:51]                  // 00000000690C: D1000034 00CA691F
	v_cndmask_b32_e64 v53, v31, v53, s[52:53]                  // 000000006914: D1000035 00D26B1F
	v_cmp_lt_i32_e64 s[50:51], 10, v16                         // 00000000691C: D0C10032 0002208A
	v_cmp_lt_i32_e64 s[52:53], 11, v16                         // 000000006924: D0C10034 0002208B
	v_cndmask_b32_e64 v54, v31, v54, s[50:51]                  // 00000000692C: D1000036 00CA6D1F
	v_cndmask_b32_e64 v55, v31, v55, s[52:53]                  // 000000006934: D1000037 00D26F1F
	v_cmp_lt_i32_e64 s[50:51], 16, v16                         // 00000000693C: D0C10032 00022090
	v_cmp_lt_i32_e64 s[52:53], 17, v16                         // 000000006944: D0C10034 00022091
	v_cndmask_b32_e64 v56, v31, v56, s[50:51]                  // 00000000694C: D1000038 00CA711F
	v_cndmask_b32_e64 v57, v31, v57, s[52:53]                  // 000000006954: D1000039 00D2731F
	v_cmp_lt_i32_e64 s[50:51], 18, v16                         // 00000000695C: D0C10032 00022092
	v_cmp_lt_i32_e64 s[52:53], 19, v16                         // 000000006964: D0C10034 00022093
	v_cndmask_b32_e64 v58, v31, v58, s[50:51]                  // 00000000696C: D100003A 00CA751F
	v_cndmask_b32_e64 v59, v31, v59, s[52:53]                  // 000000006974: D100003B 00D2771F
	v_cmp_lt_i32_e64 s[50:51], 24, v16                         // 00000000697C: D0C10032 00022098
	v_cmp_lt_i32_e64 s[52:53], 25, v16                         // 000000006984: D0C10034 00022099
	v_cndmask_b32_e64 v60, v31, v60, s[50:51]                  // 00000000698C: D100003C 00CA791F
	v_cndmask_b32_e64 v61, v31, v61, s[52:53]                  // 000000006994: D100003D 00D27B1F
	v_cmp_lt_i32_e64 s[50:51], 26, v16                         // 00000000699C: D0C10032 0002209A
	v_cmp_lt_i32_e64 s[52:53], 27, v16                         // 0000000069A4: D0C10034 0002209B
	v_cndmask_b32_e64 v62, v31, v62, s[50:51]                  // 0000000069AC: D100003E 00CA7D1F
	v_cndmask_b32_e64 v63, v31, v63, s[52:53]                  // 0000000069B4: D100003F 00D27F1F
	v_cmp_lt_i32_e64 s[50:51], 32, v16                         // 0000000069BC: D0C10032 000220A0
	v_cmp_lt_i32_e64 s[52:53], 33, v16                         // 0000000069C4: D0C10034 000220A1
	v_cndmask_b32_e64 v64, v31, v64, s[50:51]                  // 0000000069CC: D1000040 00CA811F
	v_cndmask_b32_e64 v65, v31, v65, s[52:53]                  // 0000000069D4: D1000041 00D2831F
	v_cmp_lt_i32_e64 s[50:51], 34, v16                         // 0000000069DC: D0C10032 000220A2
	v_cmp_lt_i32_e64 s[52:53], 35, v16                         // 0000000069E4: D0C10034 000220A3
	v_cndmask_b32_e64 v66, v31, v66, s[50:51]                  // 0000000069EC: D1000042 00CA851F
	v_cndmask_b32_e64 v67, v31, v67, s[52:53]                  // 0000000069F4: D1000043 00D2871F
	v_cmp_lt_i32_e64 s[50:51], 40, v16                         // 0000000069FC: D0C10032 000220A8
	v_cmp_lt_i32_e64 s[52:53], 41, v16                         // 000000006A04: D0C10034 000220A9
	v_cndmask_b32_e64 v68, v31, v68, s[50:51]                  // 000000006A0C: D1000044 00CA891F
	v_cndmask_b32_e64 v69, v31, v69, s[52:53]                  // 000000006A14: D1000045 00D28B1F
	v_cmp_lt_i32_e64 s[50:51], 42, v16                         // 000000006A1C: D0C10032 000220AA
	v_cmp_lt_i32_e64 s[52:53], 43, v16                         // 000000006A24: D0C10034 000220AB
	v_cndmask_b32_e64 v70, v31, v70, s[50:51]                  // 000000006A2C: D1000046 00CA8D1F
	v_cndmask_b32_e64 v71, v31, v71, s[52:53]                  // 000000006A34: D1000047 00D28F1F
	v_cmp_lt_i32_e64 s[50:51], 48, v16                         // 000000006A3C: D0C10032 000220B0
	v_cmp_lt_i32_e64 s[52:53], 49, v16                         // 000000006A44: D0C10034 000220B1
	v_cndmask_b32_e64 v72, v31, v72, s[50:51]                  // 000000006A4C: D1000048 00CA911F
	v_cndmask_b32_e64 v73, v31, v73, s[52:53]                  // 000000006A54: D1000049 00D2931F
	v_cmp_lt_i32_e64 s[50:51], 50, v16                         // 000000006A5C: D0C10032 000220B2
	v_cmp_lt_i32_e64 s[52:53], 51, v16                         // 000000006A64: D0C10034 000220B3
	v_cndmask_b32_e64 v74, v31, v74, s[50:51]                  // 000000006A6C: D100004A 00CA951F
	v_cndmask_b32_e64 v75, v31, v75, s[52:53]                  // 000000006A74: D100004B 00D2971F
	v_cmp_lt_i32_e64 s[50:51], 56, v16                         // 000000006A7C: D0C10032 000220B8
	v_cmp_lt_i32_e64 s[52:53], 57, v16                         // 000000006A84: D0C10034 000220B9
	v_cndmask_b32_e64 v76, v31, v76, s[50:51]                  // 000000006A8C: D100004C 00CA991F
	v_cndmask_b32_e64 v77, v31, v77, s[52:53]                  // 000000006A94: D100004D 00D29B1F
	v_cmp_lt_i32_e64 s[50:51], 58, v16                         // 000000006A9C: D0C10032 000220BA
	v_cmp_lt_i32_e64 s[52:53], 59, v16                         // 000000006AA4: D0C10034 000220BB
	v_cndmask_b32_e64 v78, v31, v78, s[50:51]                  // 000000006AAC: D100004E 00CA9D1F
	v_cndmask_b32_e64 v79, v31, v79, s[52:53]                  // 000000006AB4: D100004F 00D29F1F

0000000000006abc <label_0BEF>:
	s_mov_b32 m0, s54                                          // 000000006ABC: BEFC0036
	buffer_load_dword v4, s[12:15], s57 offen lds              // 000000006AC0: E0511000 39030004
	s_add_u32 m0, 0x880, m0                                    // 000000006AC8: 807C7CFF 00000880
	buffer_load_dword v5, s[12:15], s57 offen lds              // 000000006AD0: E0511000 39030005
	s_add_u32 m0, 0x880, m0                                    // 000000006AD8: 807C7CFF 00000880
	buffer_load_dword v6, s[12:15], s57 offen lds              // 000000006AE0: E0511000 39030006
	s_add_u32 m0, 0x880, m0                                    // 000000006AE8: 807C7CFF 00000880
	buffer_load_dword v7, s[12:15], s57 offen lds              // 000000006AF0: E0511000 39030007
	s_add_u32 m0, 0x880, m0                                    // 000000006AF8: 807C7CFF 00000880
	s_add_i32 s57, s64, s57                                    // 000000006B00: 81393940
	s_add_u32 s34, 0x100, s63                                  // 000000006B04: 80223FFF 00000100
	s_nop 0                                                    // 000000006B0C: BF800000
	s_cmp_lt_u32 s34, s62                                      // 000000006B10: BF0A3E22
	s_cselect_b32 s64, s64, 0                                  // 000000006B14: 85408040
	s_nop 7                                                    // 000000006B18: BF800007
	ds_read_b32 v192, v13 offset:17408                         // 000000006B1C: D86C4400 C000000D
	ds_read_b32 v193, v13 offset:17664                         // 000000006B24: D86C4500 C100000D
	ds_read_b32 v194, v13 offset:17920                         // 000000006B2C: D86C4600 C200000D
	ds_read_b32 v195, v13 offset:18176                         // 000000006B34: D86C4700 C300000D
	ds_read_b32 v196, v13 offset:18432                         // 000000006B3C: D86C4800 C400000D
	ds_read_b32 v197, v13 offset:18688                         // 000000006B44: D86C4900 C500000D
	ds_read_b32 v198, v13 offset:18944                         // 000000006B4C: D86C4A00 C600000D
	ds_read_b32 v199, v13 offset:19200                         // 000000006B54: D86C4B00 C700000D
	ds_read_b32 v200, v13 offset:17440                         // 000000006B5C: D86C4420 C800000D
	ds_read_b32 v201, v13 offset:17696                         // 000000006B64: D86C4520 C900000D
	ds_read_b32 v202, v13 offset:17952                         // 000000006B6C: D86C4620 CA00000D
	ds_read_b32 v203, v13 offset:18208                         // 000000006B74: D86C4720 CB00000D
	ds_read_b32 v204, v13 offset:18464                         // 000000006B7C: D86C4820 CC00000D
	ds_read_b32 v205, v13 offset:18720                         // 000000006B84: D86C4920 CD00000D
	ds_read_b32 v206, v13 offset:18976                         // 000000006B8C: D86C4A20 CE00000D
	ds_read_b32 v207, v13 offset:19232                         // 000000006B94: D86C4B20 CF00000D
	ds_read_b32 v208, v13 offset:17472                         // 000000006B9C: D86C4440 D000000D
	ds_read_b32 v209, v13 offset:17728                         // 000000006BA4: D86C4540 D100000D
	ds_read_b32 v210, v13 offset:17984                         // 000000006BAC: D86C4640 D200000D
	ds_read_b32 v211, v13 offset:18240                         // 000000006BB4: D86C4740 D300000D
	ds_read_b32 v212, v13 offset:18496                         // 000000006BBC: D86C4840 D400000D
	ds_read_b32 v213, v13 offset:18752                         // 000000006BC4: D86C4940 D500000D
	ds_read_b32 v214, v13 offset:19008                         // 000000006BCC: D86C4A40 D600000D
	ds_read_b32 v215, v13 offset:19264                         // 000000006BD4: D86C4B40 D700000D
	ds_read_b32 v216, v13 offset:17504                         // 000000006BDC: D86C4460 D800000D
	ds_read_b32 v217, v13 offset:17760                         // 000000006BE4: D86C4560 D900000D
	ds_read_b32 v218, v13 offset:18016                         // 000000006BEC: D86C4660 DA00000D
	ds_read_b32 v219, v13 offset:18272                         // 000000006BF4: D86C4760 DB00000D
	ds_read_b32 v220, v13 offset:18528                         // 000000006BFC: D86C4860 DC00000D
	ds_read_b32 v221, v13 offset:18784                         // 000000006C04: D86C4960 DD00000D
	ds_read_b32 v222, v13 offset:19040                         // 000000006C0C: D86C4A60 DE00000D
	ds_read_b32 v223, v13 offset:19296                         // 000000006C14: D86C4B60 DF00000D
	s_add_i32 s72, s72, s73                                    // 000000006C1C: 81484948
	s_addk_i32 s63, 0x40                                       // 000000006C20: B73F0040
	s_cmp_lt_i32 s63, s62                                      // 000000006C24: BF043E3F
	s_waitcnt vmcnt(8) lgkmcnt(0)                              // 000000006C28: BF8C0078
	s_barrier                                                  // 000000006C2C: BF8A0000
	s_nop 0                                                    // 000000006C30: BF800000
	v_max3_f32 v25, v48, v49, v28                              // 000000006C34: D1D30019 04726330
	v_max3_f32 v25, v50, v51, v25                              // 000000006C3C: D1D30019 04666732
	v_max3_f32 v25, v52, v53, v25                              // 000000006C44: D1D30019 04666B34
	v_max3_f32 v25, v54, v55, v25                              // 000000006C4C: D1D30019 04666F36
	v_max3_f32 v25, v56, v57, v25                              // 000000006C54: D1D30019 04667338
	v_max3_f32 v25, v58, v59, v25                              // 000000006C5C: D1D30019 0466773A
	v_max3_f32 v25, v60, v61, v25                              // 000000006C64: D1D30019 04667B3C
	v_max3_f32 v25, v62, v63, v25                              // 000000006C6C: D1D30019 04667F3E
	v_max3_f32 v25, v64, v65, v25                              // 000000006C74: D1D30019 04668340
	v_max3_f32 v25, v66, v67, v25                              // 000000006C7C: D1D30019 04668742
	v_max3_f32 v25, v68, v69, v25                              // 000000006C84: D1D30019 04668B44
	v_max3_f32 v25, v70, v71, v25                              // 000000006C8C: D1D30019 04668F46
	v_max3_f32 v25, v72, v73, v25                              // 000000006C94: D1D30019 04669348
	v_max3_f32 v25, v74, v75, v25                              // 000000006C9C: D1D30019 0466974A
	v_max3_f32 v25, v76, v77, v25                              // 000000006CA4: D1D30019 04669B4C
	v_max3_f32 v25, v78, v79, v25                              // 000000006CAC: D1D30019 04669F4E
	v_mfma_f32_32x32x16_fp8_fp8 v[112:127], v[192:193], v[80:81], v[112:127]// 000000006CB4: D3F70070 05C2A1C0
	ds_permute_b32 v24, v32, v25                               // 000000006CBC: D87C0000 18001920
	v_mfma_f32_32x32x16_fp8_fp8 v[112:127], v[194:195], v[82:83], v[112:127]// 000000006CC4: D3F70070 05C2A5C2
	v_mfma_f32_32x32x16_fp8_fp8 v[112:127], v[196:197], v[84:85], v[112:127]// 000000006CCC: D3F70070 05C2A9C4
	v_mfma_f32_32x32x16_fp8_fp8 v[112:127], v[198:199], v[86:87], v[112:127]// 000000006CD4: D3F70070 05C2ADC6
	v_mfma_f32_32x32x16_fp8_fp8 v[128:143], v[200:201], v[80:81], v[128:143]// 000000006CDC: D3F70080 0602A1C8
	v_mfma_f32_32x32x16_fp8_fp8 v[128:143], v[202:203], v[82:83], v[128:143]// 000000006CE4: D3F70080 0602A5CA
	v_mfma_f32_32x32x16_fp8_fp8 v[128:143], v[204:205], v[84:85], v[128:143]// 000000006CEC: D3F70080 0602A9CC
	v_mfma_f32_32x32x16_fp8_fp8 v[128:143], v[206:207], v[86:87], v[128:143]// 000000006CF4: D3F70080 0602ADCE
	v_mfma_f32_32x32x16_fp8_fp8 v[144:159], v[208:209], v[80:81], v[144:159]// 000000006CFC: D3F70090 0642A1D0
	s_waitcnt lgkmcnt(0)                                       // 000000006D04: BF8CC07F
	v_mfma_f32_32x32x16_fp8_fp8 v[144:159], v[210:211], v[82:83], v[144:159]// 000000006D08: D3F70090 0642A5D2
	v_mfma_f32_32x32x16_fp8_fp8 v[144:159], v[212:213], v[84:85], v[144:159]// 000000006D10: D3F70090 0642A9D4
	v_mfma_f32_32x32x16_fp8_fp8 v[144:159], v[214:215], v[86:87], v[144:159]// 000000006D18: D3F70090 0642ADD6
	v_mfma_f32_32x32x16_fp8_fp8 v[160:175], v[216:217], v[80:81], v[160:175]// 000000006D20: D3F700A0 0682A1D8
	v_mfma_f32_32x32x16_fp8_fp8 v[160:175], v[218:219], v[82:83], v[160:175]// 000000006D28: D3F700A0 0682A5DA
	v_mfma_f32_32x32x16_fp8_fp8 v[160:175], v[220:221], v[84:85], v[160:175]// 000000006D30: D3F700A0 0682A9DC
	v_mfma_f32_32x32x16_fp8_fp8 v[160:175], v[222:223], v[86:87], v[160:175]// 000000006D38: D3F700A0 0682ADDE
	v_max_f32_e32 v25, v24, v25                                // 000000006D40: 16323318
	v_sub_f32_e32 v20, v28, v25                                // 000000006D44: 0428331C
	v_mov_b32_e32 v28, v25                                     // 000000006D48: 7E380319
	v_mul_f32_e32 v27, s74, v25                                // 000000006D4C: 0A36324A
	v_mul_f32_e32 v20, s74, v20                                // 000000006D50: 0A28284A
	v_exp_f32_e32 v20, v20                                     // 000000006D54: 7E284114
	v_add_f32_e64 v36, 0, -v27                                 // 000000006D58: D1010024 40023680
	v_mov_b32_e32 v37, v36                                     // 000000006D60: 7E4A0324
	v_pk_fma_f32 v[48:49], v[48:49], s[74:75], v[36:37]        // 000000006D64: D3B04030 1C909530
	v_pk_fma_f32 v[50:51], v[50:51], s[74:75], v[36:37]        // 000000006D6C: D3B04032 1C909532
	v_pk_fma_f32 v[52:53], v[52:53], s[74:75], v[36:37]        // 000000006D74: D3B04034 1C909534
	v_pk_fma_f32 v[54:55], v[54:55], s[74:75], v[36:37]        // 000000006D7C: D3B04036 1C909536
	v_pk_fma_f32 v[56:57], v[56:57], s[74:75], v[36:37]        // 000000006D84: D3B04038 1C909538
	v_pk_fma_f32 v[58:59], v[58:59], s[74:75], v[36:37]        // 000000006D8C: D3B0403A 1C90953A
	v_pk_fma_f32 v[60:61], v[60:61], s[74:75], v[36:37]        // 000000006D94: D3B0403C 1C90953C
	v_pk_fma_f32 v[62:63], v[62:63], s[74:75], v[36:37]        // 000000006D9C: D3B0403E 1C90953E
	v_pk_fma_f32 v[64:65], v[64:65], s[74:75], v[36:37]        // 000000006DA4: D3B04040 1C909540
	v_pk_fma_f32 v[66:67], v[66:67], s[74:75], v[36:37]        // 000000006DAC: D3B04042 1C909542
	v_pk_fma_f32 v[68:69], v[68:69], s[74:75], v[36:37]        // 000000006DB4: D3B04044 1C909544
	v_pk_fma_f32 v[70:71], v[70:71], s[74:75], v[36:37]        // 000000006DBC: D3B04046 1C909546
	v_pk_fma_f32 v[72:73], v[72:73], s[74:75], v[36:37]        // 000000006DC4: D3B04048 1C909548
	v_pk_fma_f32 v[74:75], v[74:75], s[74:75], v[36:37]        // 000000006DCC: D3B0404A 1C90954A
	v_pk_fma_f32 v[76:77], v[76:77], s[74:75], v[36:37]        // 000000006DD4: D3B0404C 1C90954C
	v_pk_fma_f32 v[78:79], v[78:79], s[74:75], v[36:37]        // 000000006DDC: D3B0404E 1C90954E
	s_nop 0                                                    // 000000006DE4: BF800000
	v_mov_b32_e32 v21, v20                                     // 000000006DE8: 7E2A0314
	v_mul_f32_e32 v112, v20, v112                              // 000000006DEC: 0AE0E114
	v_mul_f32_e32 v113, v20, v113                              // 000000006DF0: 0AE2E314
	v_pk_mul_f32 v[114:115], v[20:21], v[114:115]              // 000000006DF4: D3B14072 1802E514
	v_pk_mul_f32 v[116:117], v[20:21], v[116:117]              // 000000006DFC: D3B14074 1802E914
	v_pk_mul_f32 v[118:119], v[20:21], v[118:119]              // 000000006E04: D3B14076 1802ED14
	v_pk_mul_f32 v[120:121], v[20:21], v[120:121]              // 000000006E0C: D3B14078 1802F114
	v_pk_mul_f32 v[122:123], v[20:21], v[122:123]              // 000000006E14: D3B1407A 1802F514
	v_pk_mul_f32 v[124:125], v[20:21], v[124:125]              // 000000006E1C: D3B1407C 1802F914
	v_pk_mul_f32 v[126:127], v[20:21], v[126:127]              // 000000006E24: D3B1407E 1802FD14
	v_pk_mul_f32 v[128:129], v[20:21], v[128:129]              // 000000006E2C: D3B14080 18030114
	v_pk_mul_f32 v[130:131], v[20:21], v[130:131]              // 000000006E34: D3B14082 18030514
	v_pk_mul_f32 v[132:133], v[20:21], v[132:133]              // 000000006E3C: D3B14084 18030914
	v_pk_mul_f32 v[134:135], v[20:21], v[134:135]              // 000000006E44: D3B14086 18030D14
	v_pk_mul_f32 v[136:137], v[20:21], v[136:137]              // 000000006E4C: D3B14088 18031114
	v_pk_mul_f32 v[138:139], v[20:21], v[138:139]              // 000000006E54: D3B1408A 18031514
	v_pk_mul_f32 v[140:141], v[20:21], v[140:141]              // 000000006E5C: D3B1408C 18031914
	v_pk_mul_f32 v[142:143], v[20:21], v[142:143]              // 000000006E64: D3B1408E 18031D14
	v_pk_mul_f32 v[144:145], v[20:21], v[144:145]              // 000000006E6C: D3B14090 18032114
	v_pk_mul_f32 v[146:147], v[20:21], v[146:147]              // 000000006E74: D3B14092 18032514
	v_pk_mul_f32 v[148:149], v[20:21], v[148:149]              // 000000006E7C: D3B14094 18032914
	v_pk_mul_f32 v[150:151], v[20:21], v[150:151]              // 000000006E84: D3B14096 18032D14
	v_pk_mul_f32 v[152:153], v[20:21], v[152:153]              // 000000006E8C: D3B14098 18033114
	v_pk_mul_f32 v[154:155], v[20:21], v[154:155]              // 000000006E94: D3B1409A 18033514
	v_pk_mul_f32 v[156:157], v[20:21], v[156:157]              // 000000006E9C: D3B1409C 18033914
	v_pk_mul_f32 v[158:159], v[20:21], v[158:159]              // 000000006EA4: D3B1409E 18033D14
	v_pk_mul_f32 v[160:161], v[20:21], v[160:161]              // 000000006EAC: D3B140A0 18034114
	v_pk_mul_f32 v[162:163], v[20:21], v[162:163]              // 000000006EB4: D3B140A2 18034514
	v_pk_mul_f32 v[164:165], v[20:21], v[164:165]              // 000000006EBC: D3B140A4 18034914
	v_pk_mul_f32 v[166:167], v[20:21], v[166:167]              // 000000006EC4: D3B140A6 18034D14
	v_pk_mul_f32 v[168:169], v[20:21], v[168:169]              // 000000006ECC: D3B140A8 18035114
	v_pk_mul_f32 v[170:171], v[20:21], v[170:171]              // 000000006ED4: D3B140AA 18035514
	v_pk_mul_f32 v[172:173], v[20:21], v[172:173]              // 000000006EDC: D3B140AC 18035914
	v_pk_mul_f32 v[174:175], v[20:21], v[174:175]              // 000000006EE4: D3B140AE 18035D14
	s_cbranch_scc0 label_0CFD                                  // 000000006EEC: BF840001
	s_branch label_085A                                        // 000000006EF0: BF82FB5D

0000000000006ef4 <label_0CFD>:
	s_add_u32 s34, s62, 63                                     // 000000006EF4: 8022BF3E
	s_lshr_b32 s34, s34, 6                                     // 000000006EF8: 8F228622
	s_and_b32 s34, 1, s34                                      // 000000006EFC: 86222281
	s_cmp_lt_i32 s34, 1                                        // 000000006F00: BF048122
	s_cbranch_scc0 label_0DE4                                  // 000000006F04: BF8400E2
	s_waitcnt vmcnt(4)                                         // 000000006F08: BF8C0F74
	s_barrier                                                  // 000000006F0C: BF8A0000
	s_nop 0                                                    // 000000006F10: BF800000
	v_perm_b32 v16, v229, v228, s69                            // 000000006F14: D1ED0010 0117C9E5
	v_perm_b32 v17, v229, v228, s70                            // 000000006F1C: D1ED0011 011BC9E5
	v_perm_b32 v18, v231, v230, s69                            // 000000006F24: D1ED0012 0117CDE7
	v_perm_b32 v19, v231, v230, s70                            // 000000006F2C: D1ED0013 011BCDE7
	v_perm_b32 v232, v18, v16, s68                             // 000000006F34: D1ED00E8 01122112
	v_perm_b32 v233, v18, v16, s67                             // 000000006F3C: D1ED00E9 010E2112
	v_perm_b32 v234, v19, v17, s68                             // 000000006F44: D1ED00EA 01122313
	v_perm_b32 v235, v19, v17, s67                             // 000000006F4C: D1ED00EB 010E2313
	ds_write_b32 v14, v232 offset:17408                        // 000000006F54: D81A4400 0000E80E
	ds_write_b32 v14, v233 offset:19488                        // 000000006F5C: D81A4C20 0000E90E
	ds_write_b32 v14, v234 offset:21568                        // 000000006F64: D81A5440 0000EA0E
	ds_write_b32 v14, v235 offset:23648                        // 000000006F6C: D81A5C60 0000EB0E
	s_waitcnt lgkmcnt(0)                                       // 000000006F74: BF8CC07F
	s_barrier                                                  // 000000006F78: BF8A0000
	ds_read_b32 v192, v13 offset:17408                         // 000000006F7C: D86C4400 C000000D
	ds_read_b32 v193, v13 offset:17664                         // 000000006F84: D86C4500 C100000D
	ds_read_b32 v194, v13 offset:17920                         // 000000006F8C: D86C4600 C200000D
	ds_read_b32 v195, v13 offset:18176                         // 000000006F94: D86C4700 C300000D
	ds_read_b32 v196, v13 offset:18432                         // 000000006F9C: D86C4800 C400000D
	ds_read_b32 v197, v13 offset:18688                         // 000000006FA4: D86C4900 C500000D
	ds_read_b32 v198, v13 offset:18944                         // 000000006FAC: D86C4A00 C600000D
	ds_read_b32 v199, v13 offset:19200                         // 000000006FB4: D86C4B00 C700000D
	ds_read_b32 v200, v13 offset:17440                         // 000000006FBC: D86C4420 C800000D
	ds_read_b32 v201, v13 offset:17696                         // 000000006FC4: D86C4520 C900000D
	ds_read_b32 v202, v13 offset:17952                         // 000000006FCC: D86C4620 CA00000D
	ds_read_b32 v203, v13 offset:18208                         // 000000006FD4: D86C4720 CB00000D
	ds_read_b32 v204, v13 offset:18464                         // 000000006FDC: D86C4820 CC00000D
	ds_read_b32 v205, v13 offset:18720                         // 000000006FE4: D86C4920 CD00000D
	ds_read_b32 v206, v13 offset:18976                         // 000000006FEC: D86C4A20 CE00000D
	ds_read_b32 v207, v13 offset:19232                         // 000000006FF4: D86C4B20 CF00000D
	ds_read_b32 v208, v13 offset:17472                         // 000000006FFC: D86C4440 D000000D
	ds_read_b32 v209, v13 offset:17728                         // 000000007004: D86C4540 D100000D
	ds_read_b32 v210, v13 offset:17984                         // 00000000700C: D86C4640 D200000D
	ds_read_b32 v211, v13 offset:18240                         // 000000007014: D86C4740 D300000D
	ds_read_b32 v212, v13 offset:18496                         // 00000000701C: D86C4840 D400000D
	ds_read_b32 v213, v13 offset:18752                         // 000000007024: D86C4940 D500000D
	ds_read_b32 v214, v13 offset:19008                         // 00000000702C: D86C4A40 D600000D
	ds_read_b32 v215, v13 offset:19264                         // 000000007034: D86C4B40 D700000D
	ds_read_b32 v216, v13 offset:17504                         // 00000000703C: D86C4460 D800000D
	ds_read_b32 v217, v13 offset:17760                         // 000000007044: D86C4560 D900000D
	ds_read_b32 v218, v13 offset:18016                         // 00000000704C: D86C4660 DA00000D
	ds_read_b32 v219, v13 offset:18272                         // 000000007054: D86C4760 DB00000D
	ds_read_b32 v220, v13 offset:18528                         // 00000000705C: D86C4860 DC00000D
	ds_read_b32 v221, v13 offset:18784                         // 000000007064: D86C4960 DD00000D
	ds_read_b32 v222, v13 offset:19040                         // 00000000706C: D86C4A60 DE00000D
	ds_read_b32 v223, v13 offset:19296                         // 000000007074: D86C4B60 DF00000D
	v_exp_f32_e32 v80, v80                                     // 00000000707C: 7EA04150
	v_exp_f32_e32 v81, v81                                     // 000000007080: 7EA24151
	v_exp_f32_e32 v82, v82                                     // 000000007084: 7EA44152
	v_exp_f32_e32 v83, v83                                     // 000000007088: 7EA64153
	v_exp_f32_e32 v84, v84                                     // 00000000708C: 7EA84154
	v_exp_f32_e32 v85, v85                                     // 000000007090: 7EAA4155
	v_exp_f32_e32 v86, v86                                     // 000000007094: 7EAC4156
	v_exp_f32_e32 v87, v87                                     // 000000007098: 7EAE4157
	v_exp_f32_e32 v88, v88                                     // 00000000709C: 7EB04158
	v_exp_f32_e32 v89, v89                                     // 0000000070A0: 7EB24159
	v_exp_f32_e32 v90, v90                                     // 0000000070A4: 7EB4415A
	v_exp_f32_e32 v91, v91                                     // 0000000070A8: 7EB6415B
	v_exp_f32_e32 v92, v92                                     // 0000000070AC: 7EB8415C
	v_exp_f32_e32 v93, v93                                     // 0000000070B0: 7EBA415D
	v_exp_f32_e32 v94, v94                                     // 0000000070B4: 7EBC415E
	v_exp_f32_e32 v95, v95                                     // 0000000070B8: 7EBE415F
	v_exp_f32_e32 v96, v96                                     // 0000000070BC: 7EC04160
	v_exp_f32_e32 v97, v97                                     // 0000000070C0: 7EC24161
	v_exp_f32_e32 v98, v98                                     // 0000000070C4: 7EC44162
	v_exp_f32_e32 v99, v99                                     // 0000000070C8: 7EC64163
	v_exp_f32_e32 v100, v100                                   // 0000000070CC: 7EC84164
	v_exp_f32_e32 v101, v101                                   // 0000000070D0: 7ECA4165
	v_exp_f32_e32 v102, v102                                   // 0000000070D4: 7ECC4166
	v_exp_f32_e32 v103, v103                                   // 0000000070D8: 7ECE4167
	v_exp_f32_e32 v104, v104                                   // 0000000070DC: 7ED04168
	v_exp_f32_e32 v105, v105                                   // 0000000070E0: 7ED24169
	v_exp_f32_e32 v106, v106                                   // 0000000070E4: 7ED4416A
	v_exp_f32_e32 v107, v107                                   // 0000000070E8: 7ED6416B
	v_exp_f32_e32 v108, v108                                   // 0000000070EC: 7ED8416C
	v_exp_f32_e32 v109, v109                                   // 0000000070F0: 7EDA416D
	v_exp_f32_e32 v110, v110                                   // 0000000070F4: 7EDC416E
	v_exp_f32_e32 v111, v111                                   // 0000000070F8: 7EDE416F
	v_mul_f32_e32 v22, v20, v22                                // 0000000070FC: 0A2C2D14
	s_nop 0                                                    // 000000007100: BF800000
	v_pk_add_f32 v[38:39], v[80:81], v[82:83]                  // 000000007104: D3B24026 1802A550
	v_pk_add_f32 v[38:39], v[84:85], v[38:39]                  // 00000000710C: D3B24026 18024D54
	v_pk_add_f32 v[38:39], v[86:87], v[38:39]                  // 000000007114: D3B24026 18024D56
	v_pk_add_f32 v[38:39], v[88:89], v[38:39]                  // 00000000711C: D3B24026 18024D58
	v_pk_add_f32 v[38:39], v[90:91], v[38:39]                  // 000000007124: D3B24026 18024D5A
	v_pk_add_f32 v[38:39], v[92:93], v[38:39]                  // 00000000712C: D3B24026 18024D5C
	v_pk_add_f32 v[38:39], v[94:95], v[38:39]                  // 000000007134: D3B24026 18024D5E
	v_pk_add_f32 v[38:39], v[96:97], v[38:39]                  // 00000000713C: D3B24026 18024D60
	v_pk_add_f32 v[38:39], v[98:99], v[38:39]                  // 000000007144: D3B24026 18024D62
	v_pk_add_f32 v[38:39], v[100:101], v[38:39]                // 00000000714C: D3B24026 18024D64
	v_pk_add_f32 v[38:39], v[102:103], v[38:39]                // 000000007154: D3B24026 18024D66
	v_pk_add_f32 v[38:39], v[104:105], v[38:39]                // 00000000715C: D3B24026 18024D68
	v_pk_add_f32 v[38:39], v[106:107], v[38:39]                // 000000007164: D3B24026 18024D6A
	v_pk_add_f32 v[38:39], v[108:109], v[38:39]                // 00000000716C: D3B24026 18024D6C
	v_pk_add_f32 v[38:39], v[110:111], v[38:39]                // 000000007174: D3B24026 18024D6E
	v_add_f32_e32 v38, v38, v39                                // 00000000717C: 024C4F26
	v_add_f32_e32 v22, v38, v22                                // 000000007180: 022C2D26
	v_cvt_pk_fp8_f32 v80, v80, v81                             // 000000007184: D2A20050 0002A350
	v_cvt_pk_fp8_f32 v80, v82, v83 op_sel:[0,0,1]              // 00000000718C: D2A24050 0002A752
	v_cvt_pk_fp8_f32 v81, v84, v85                             // 000000007194: D2A20051 0002AB54
	v_cvt_pk_fp8_f32 v81, v86, v87 op_sel:[0,0,1]              // 00000000719C: D2A24051 0002AF56
	v_cvt_pk_fp8_f32 v82, v88, v89                             // 0000000071A4: D2A20052 0002B358
	v_cvt_pk_fp8_f32 v82, v90, v91 op_sel:[0,0,1]              // 0000000071AC: D2A24052 0002B75A
	v_cvt_pk_fp8_f32 v83, v92, v93                             // 0000000071B4: D2A20053 0002BB5C
	v_cvt_pk_fp8_f32 v83, v94, v95 op_sel:[0,0,1]              // 0000000071BC: D2A24053 0002BF5E
	v_cvt_pk_fp8_f32 v84, v96, v97                             // 0000000071C4: D2A20054 0002C360
	v_cvt_pk_fp8_f32 v84, v98, v99 op_sel:[0,0,1]              // 0000000071CC: D2A24054 0002C762
	v_cvt_pk_fp8_f32 v85, v100, v101                           // 0000000071D4: D2A20055 0002CB64
	v_cvt_pk_fp8_f32 v85, v102, v103 op_sel:[0,0,1]            // 0000000071DC: D2A24055 0002CF66
	v_cvt_pk_fp8_f32 v86, v104, v105                           // 0000000071E4: D2A20056 0002D368
	v_cvt_pk_fp8_f32 v86, v106, v107 op_sel:[0,0,1]            // 0000000071EC: D2A24056 0002D76A
	v_cvt_pk_fp8_f32 v87, v108, v109                           // 0000000071F4: D2A20057 0002DB6C
	v_cvt_pk_fp8_f32 v87, v110, v111 op_sel:[0,0,1]            // 0000000071FC: D2A24057 0002DF6E
	s_waitcnt lgkmcnt(0)                                       // 000000007204: BF8CC07F
	s_nop 0                                                    // 000000007208: BF800000
	v_mfma_f32_32x32x16_fp8_fp8 v[112:127], v[192:193], v[80:81], v[112:127]// 00000000720C: D3F70070 05C2A1C0
	v_mfma_f32_32x32x16_fp8_fp8 v[112:127], v[194:195], v[82:83], v[112:127]// 000000007214: D3F70070 05C2A5C2
	v_mfma_f32_32x32x16_fp8_fp8 v[112:127], v[196:197], v[84:85], v[112:127]// 00000000721C: D3F70070 05C2A9C4
	v_mfma_f32_32x32x16_fp8_fp8 v[112:127], v[198:199], v[86:87], v[112:127]// 000000007224: D3F70070 05C2ADC6
	v_mfma_f32_32x32x16_fp8_fp8 v[128:143], v[200:201], v[80:81], v[128:143]// 00000000722C: D3F70080 0602A1C8
	v_mfma_f32_32x32x16_fp8_fp8 v[128:143], v[202:203], v[82:83], v[128:143]// 000000007234: D3F70080 0602A5CA
	v_mfma_f32_32x32x16_fp8_fp8 v[128:143], v[204:205], v[84:85], v[128:143]// 00000000723C: D3F70080 0602A9CC
	v_mfma_f32_32x32x16_fp8_fp8 v[128:143], v[206:207], v[86:87], v[128:143]// 000000007244: D3F70080 0602ADCE
	v_mfma_f32_32x32x16_fp8_fp8 v[144:159], v[208:209], v[80:81], v[144:159]// 00000000724C: D3F70090 0642A1D0
	v_mfma_f32_32x32x16_fp8_fp8 v[144:159], v[210:211], v[82:83], v[144:159]// 000000007254: D3F70090 0642A5D2
	v_mfma_f32_32x32x16_fp8_fp8 v[144:159], v[212:213], v[84:85], v[144:159]// 00000000725C: D3F70090 0642A9D4
	v_mfma_f32_32x32x16_fp8_fp8 v[144:159], v[214:215], v[86:87], v[144:159]// 000000007264: D3F70090 0642ADD6
	v_mfma_f32_32x32x16_fp8_fp8 v[160:175], v[216:217], v[80:81], v[160:175]// 00000000726C: D3F700A0 0682A1D8
	v_mfma_f32_32x32x16_fp8_fp8 v[160:175], v[218:219], v[82:83], v[160:175]// 000000007274: D3F700A0 0682A5DA
	v_mfma_f32_32x32x16_fp8_fp8 v[160:175], v[220:221], v[84:85], v[160:175]// 00000000727C: D3F700A0 0682A9DC
	v_mfma_f32_32x32x16_fp8_fp8 v[160:175], v[222:223], v[86:87], v[160:175]// 000000007284: D3F700A0 0682ADDE
	s_branch label_0EC5                                        // 00000000728C: BF8200E1

0000000000007290 <label_0DE4>:
	s_waitcnt vmcnt(4)                                         // 000000007290: BF8C0F74
	s_barrier                                                  // 000000007294: BF8A0000
	s_nop 0                                                    // 000000007298: BF800000
	v_perm_b32 v16, v225, v224, s69                            // 00000000729C: D1ED0010 0117C1E1
	v_perm_b32 v17, v225, v224, s70                            // 0000000072A4: D1ED0011 011BC1E1
	v_perm_b32 v18, v227, v226, s69                            // 0000000072AC: D1ED0012 0117C5E3
	v_perm_b32 v19, v227, v226, s70                            // 0000000072B4: D1ED0013 011BC5E3
	v_perm_b32 v232, v18, v16, s68                             // 0000000072BC: D1ED00E8 01122112
	v_perm_b32 v233, v18, v16, s67                             // 0000000072C4: D1ED00E9 010E2112
	v_perm_b32 v234, v19, v17, s68                             // 0000000072CC: D1ED00EA 01122313
	v_perm_b32 v235, v19, v17, s67                             // 0000000072D4: D1ED00EB 010E2313
	ds_write_b32 v14, v232 offset:17408                        // 0000000072DC: D81A4400 0000E80E
	ds_write_b32 v14, v233 offset:19488                        // 0000000072E4: D81A4C20 0000E90E
	ds_write_b32 v14, v234 offset:21568                        // 0000000072EC: D81A5440 0000EA0E
	ds_write_b32 v14, v235 offset:23648                        // 0000000072F4: D81A5C60 0000EB0E
	s_waitcnt lgkmcnt(0)                                       // 0000000072FC: BF8CC07F
	s_barrier                                                  // 000000007300: BF8A0000
	ds_read_b32 v192, v13 offset:17408                         // 000000007304: D86C4400 C000000D
	ds_read_b32 v193, v13 offset:17664                         // 00000000730C: D86C4500 C100000D
	ds_read_b32 v194, v13 offset:17920                         // 000000007314: D86C4600 C200000D
	ds_read_b32 v195, v13 offset:18176                         // 00000000731C: D86C4700 C300000D
	ds_read_b32 v196, v13 offset:18432                         // 000000007324: D86C4800 C400000D
	ds_read_b32 v197, v13 offset:18688                         // 00000000732C: D86C4900 C500000D
	ds_read_b32 v198, v13 offset:18944                         // 000000007334: D86C4A00 C600000D
	ds_read_b32 v199, v13 offset:19200                         // 00000000733C: D86C4B00 C700000D
	ds_read_b32 v200, v13 offset:17440                         // 000000007344: D86C4420 C800000D
	ds_read_b32 v201, v13 offset:17696                         // 00000000734C: D86C4520 C900000D
	ds_read_b32 v202, v13 offset:17952                         // 000000007354: D86C4620 CA00000D
	ds_read_b32 v203, v13 offset:18208                         // 00000000735C: D86C4720 CB00000D
	ds_read_b32 v204, v13 offset:18464                         // 000000007364: D86C4820 CC00000D
	ds_read_b32 v205, v13 offset:18720                         // 00000000736C: D86C4920 CD00000D
	ds_read_b32 v206, v13 offset:18976                         // 000000007374: D86C4A20 CE00000D
	ds_read_b32 v207, v13 offset:19232                         // 00000000737C: D86C4B20 CF00000D
	ds_read_b32 v208, v13 offset:17472                         // 000000007384: D86C4440 D000000D
	ds_read_b32 v209, v13 offset:17728                         // 00000000738C: D86C4540 D100000D
	ds_read_b32 v210, v13 offset:17984                         // 000000007394: D86C4640 D200000D
	ds_read_b32 v211, v13 offset:18240                         // 00000000739C: D86C4740 D300000D
	ds_read_b32 v212, v13 offset:18496                         // 0000000073A4: D86C4840 D400000D
	ds_read_b32 v213, v13 offset:18752                         // 0000000073AC: D86C4940 D500000D
	ds_read_b32 v214, v13 offset:19008                         // 0000000073B4: D86C4A40 D600000D
	ds_read_b32 v215, v13 offset:19264                         // 0000000073BC: D86C4B40 D700000D
	ds_read_b32 v216, v13 offset:17504                         // 0000000073C4: D86C4460 D800000D
	ds_read_b32 v217, v13 offset:17760                         // 0000000073CC: D86C4560 D900000D
	ds_read_b32 v218, v13 offset:18016                         // 0000000073D4: D86C4660 DA00000D
	ds_read_b32 v219, v13 offset:18272                         // 0000000073DC: D86C4760 DB00000D
	ds_read_b32 v220, v13 offset:18528                         // 0000000073E4: D86C4860 DC00000D
	ds_read_b32 v221, v13 offset:18784                         // 0000000073EC: D86C4960 DD00000D
	ds_read_b32 v222, v13 offset:19040                         // 0000000073F4: D86C4A60 DE00000D
	ds_read_b32 v223, v13 offset:19296                         // 0000000073FC: D86C4B60 DF00000D
	v_exp_f32_e32 v48, v48                                     // 000000007404: 7E604130
	v_exp_f32_e32 v49, v49                                     // 000000007408: 7E624131
	v_exp_f32_e32 v50, v50                                     // 00000000740C: 7E644132
	v_exp_f32_e32 v51, v51                                     // 000000007410: 7E664133
	v_exp_f32_e32 v52, v52                                     // 000000007414: 7E684134
	v_exp_f32_e32 v53, v53                                     // 000000007418: 7E6A4135
	v_exp_f32_e32 v54, v54                                     // 00000000741C: 7E6C4136
	v_exp_f32_e32 v55, v55                                     // 000000007420: 7E6E4137
	v_exp_f32_e32 v56, v56                                     // 000000007424: 7E704138
	v_exp_f32_e32 v57, v57                                     // 000000007428: 7E724139
	v_exp_f32_e32 v58, v58                                     // 00000000742C: 7E74413A
	v_exp_f32_e32 v59, v59                                     // 000000007430: 7E76413B
	v_exp_f32_e32 v60, v60                                     // 000000007434: 7E78413C
	v_exp_f32_e32 v61, v61                                     // 000000007438: 7E7A413D
	v_exp_f32_e32 v62, v62                                     // 00000000743C: 7E7C413E
	v_exp_f32_e32 v63, v63                                     // 000000007440: 7E7E413F
	v_exp_f32_e32 v64, v64                                     // 000000007444: 7E804140
	v_exp_f32_e32 v65, v65                                     // 000000007448: 7E824141
	v_exp_f32_e32 v66, v66                                     // 00000000744C: 7E844142
	v_exp_f32_e32 v67, v67                                     // 000000007450: 7E864143
	v_exp_f32_e32 v68, v68                                     // 000000007454: 7E884144
	v_exp_f32_e32 v69, v69                                     // 000000007458: 7E8A4145
	v_exp_f32_e32 v70, v70                                     // 00000000745C: 7E8C4146
	v_exp_f32_e32 v71, v71                                     // 000000007460: 7E8E4147
	v_exp_f32_e32 v72, v72                                     // 000000007464: 7E904148
	v_exp_f32_e32 v73, v73                                     // 000000007468: 7E924149
	v_exp_f32_e32 v74, v74                                     // 00000000746C: 7E94414A
	v_exp_f32_e32 v75, v75                                     // 000000007470: 7E96414B
	v_exp_f32_e32 v76, v76                                     // 000000007474: 7E98414C
	v_exp_f32_e32 v77, v77                                     // 000000007478: 7E9A414D
	v_exp_f32_e32 v78, v78                                     // 00000000747C: 7E9C414E
	v_exp_f32_e32 v79, v79                                     // 000000007480: 7E9E414F
	v_mul_f32_e32 v22, v20, v22                                // 000000007484: 0A2C2D14
	s_nop 0                                                    // 000000007488: BF800000
	v_pk_add_f32 v[38:39], v[48:49], v[50:51]                  // 00000000748C: D3B24026 18026530
	v_pk_add_f32 v[38:39], v[52:53], v[38:39]                  // 000000007494: D3B24026 18024D34
	v_pk_add_f32 v[38:39], v[54:55], v[38:39]                  // 00000000749C: D3B24026 18024D36
	v_pk_add_f32 v[38:39], v[56:57], v[38:39]                  // 0000000074A4: D3B24026 18024D38
	v_pk_add_f32 v[38:39], v[58:59], v[38:39]                  // 0000000074AC: D3B24026 18024D3A
	v_pk_add_f32 v[38:39], v[60:61], v[38:39]                  // 0000000074B4: D3B24026 18024D3C
	v_pk_add_f32 v[38:39], v[62:63], v[38:39]                  // 0000000074BC: D3B24026 18024D3E
	v_pk_add_f32 v[38:39], v[64:65], v[38:39]                  // 0000000074C4: D3B24026 18024D40
	v_pk_add_f32 v[38:39], v[66:67], v[38:39]                  // 0000000074CC: D3B24026 18024D42
	v_pk_add_f32 v[38:39], v[68:69], v[38:39]                  // 0000000074D4: D3B24026 18024D44
	v_pk_add_f32 v[38:39], v[70:71], v[38:39]                  // 0000000074DC: D3B24026 18024D46
	v_pk_add_f32 v[38:39], v[72:73], v[38:39]                  // 0000000074E4: D3B24026 18024D48
	v_pk_add_f32 v[38:39], v[74:75], v[38:39]                  // 0000000074EC: D3B24026 18024D4A
	v_pk_add_f32 v[38:39], v[76:77], v[38:39]                  // 0000000074F4: D3B24026 18024D4C
	v_pk_add_f32 v[38:39], v[78:79], v[38:39]                  // 0000000074FC: D3B24026 18024D4E
	v_add_f32_e32 v38, v38, v39                                // 000000007504: 024C4F26
	v_add_f32_e32 v22, v38, v22                                // 000000007508: 022C2D26
	v_cvt_pk_fp8_f32 v48, v48, v49                             // 00000000750C: D2A20030 00026330
	v_cvt_pk_fp8_f32 v48, v50, v51 op_sel:[0,0,1]              // 000000007514: D2A24030 00026732
	v_cvt_pk_fp8_f32 v49, v52, v53                             // 00000000751C: D2A20031 00026B34
	v_cvt_pk_fp8_f32 v49, v54, v55 op_sel:[0,0,1]              // 000000007524: D2A24031 00026F36
	v_cvt_pk_fp8_f32 v50, v56, v57                             // 00000000752C: D2A20032 00027338
	v_cvt_pk_fp8_f32 v50, v58, v59 op_sel:[0,0,1]              // 000000007534: D2A24032 0002773A
	v_cvt_pk_fp8_f32 v51, v60, v61                             // 00000000753C: D2A20033 00027B3C
	v_cvt_pk_fp8_f32 v51, v62, v63 op_sel:[0,0,1]              // 000000007544: D2A24033 00027F3E
	v_cvt_pk_fp8_f32 v52, v64, v65                             // 00000000754C: D2A20034 00028340
	v_cvt_pk_fp8_f32 v52, v66, v67 op_sel:[0,0,1]              // 000000007554: D2A24034 00028742
	v_cvt_pk_fp8_f32 v53, v68, v69                             // 00000000755C: D2A20035 00028B44
	v_cvt_pk_fp8_f32 v53, v70, v71 op_sel:[0,0,1]              // 000000007564: D2A24035 00028F46
	v_cvt_pk_fp8_f32 v54, v72, v73                             // 00000000756C: D2A20036 00029348
	v_cvt_pk_fp8_f32 v54, v74, v75 op_sel:[0,0,1]              // 000000007574: D2A24036 0002974A
	v_cvt_pk_fp8_f32 v55, v76, v77                             // 00000000757C: D2A20037 00029B4C
	v_cvt_pk_fp8_f32 v55, v78, v79 op_sel:[0,0,1]              // 000000007584: D2A24037 00029F4E
	s_waitcnt lgkmcnt(0)                                       // 00000000758C: BF8CC07F
	s_nop 0                                                    // 000000007590: BF800000
	v_mfma_f32_32x32x16_fp8_fp8 v[112:127], v[192:193], v[48:49], v[112:127]// 000000007594: D3F70070 05C261C0
	v_mfma_f32_32x32x16_fp8_fp8 v[112:127], v[194:195], v[50:51], v[112:127]// 00000000759C: D3F70070 05C265C2
	v_mfma_f32_32x32x16_fp8_fp8 v[112:127], v[196:197], v[52:53], v[112:127]// 0000000075A4: D3F70070 05C269C4
	v_mfma_f32_32x32x16_fp8_fp8 v[112:127], v[198:199], v[54:55], v[112:127]// 0000000075AC: D3F70070 05C26DC6
	v_mfma_f32_32x32x16_fp8_fp8 v[128:143], v[200:201], v[48:49], v[128:143]// 0000000075B4: D3F70080 060261C8
	v_mfma_f32_32x32x16_fp8_fp8 v[128:143], v[202:203], v[50:51], v[128:143]// 0000000075BC: D3F70080 060265CA
	v_mfma_f32_32x32x16_fp8_fp8 v[128:143], v[204:205], v[52:53], v[128:143]// 0000000075C4: D3F70080 060269CC
	v_mfma_f32_32x32x16_fp8_fp8 v[128:143], v[206:207], v[54:55], v[128:143]// 0000000075CC: D3F70080 06026DCE
	v_mfma_f32_32x32x16_fp8_fp8 v[144:159], v[208:209], v[48:49], v[144:159]// 0000000075D4: D3F70090 064261D0
	v_mfma_f32_32x32x16_fp8_fp8 v[144:159], v[210:211], v[50:51], v[144:159]// 0000000075DC: D3F70090 064265D2
	v_mfma_f32_32x32x16_fp8_fp8 v[144:159], v[212:213], v[52:53], v[144:159]// 0000000075E4: D3F70090 064269D4
	v_mfma_f32_32x32x16_fp8_fp8 v[144:159], v[214:215], v[54:55], v[144:159]// 0000000075EC: D3F70090 06426DD6
	v_mfma_f32_32x32x16_fp8_fp8 v[160:175], v[216:217], v[48:49], v[160:175]// 0000000075F4: D3F700A0 068261D8
	v_mfma_f32_32x32x16_fp8_fp8 v[160:175], v[218:219], v[50:51], v[160:175]// 0000000075FC: D3F700A0 068265DA
	v_mfma_f32_32x32x16_fp8_fp8 v[160:175], v[220:221], v[52:53], v[160:175]// 000000007604: D3F700A0 068269DC
	v_mfma_f32_32x32x16_fp8_fp8 v[160:175], v[222:223], v[54:55], v[160:175]// 00000000760C: D3F700A0 06826DDE

0000000000007614 <label_0EC5>:
	s_nop 0                                                    // 000000007614: BF800000
	v_cvt_f32_u32_e32 v16, s41                                 // 000000007618: 7E200C29
	s_sub_i32 s34, 0, s41                                      // 00000000761C: 81A22980
	v_rcp_iflag_f32_e32 v16, v16                               // 000000007620: 7E204710
	s_nop 0                                                    // 000000007624: BF800000
	v_mul_f32_e32 v16, 0x4f7ffffe, v16                         // 000000007628: 0A2020FF 4F7FFFFE
	v_cvt_u32_f32_e32 v16, v16                                 // 000000007630: 7E200F10
	v_mul_lo_u32 v17, s34, v16                                 // 000000007634: D2850011 00022022
	v_mul_hi_u32 v17, v16, v17                                 // 00000000763C: D2860011 00022310
	v_add_u32_e32 v16, v16, v17                                // 000000007644: 68202310
	v_mul_hi_u32 v16, s42, v16                                 // 000000007648: D2860010 0002202A
	v_mul_lo_u32 v17, v16, s41                                 // 000000007650: D2850011 00005310
	v_sub_u32_e32 v19, s42, v17                                // 000000007658: 6A26222A
	v_add_u32_e32 v18, 1, v16                                  // 00000000765C: 68242081
	v_cmp_le_u32_e32 vcc, s41, v19                             // 000000007660: 7D962629
	v_subrev_u32_e32 v17, s41, v19                             // 000000007664: 6C222629
	s_nop 0                                                    // 000000007668: BF800000
	v_cndmask_b32_e32 v16, v16, v18, vcc                       // 00000000766C: 00202510
	v_cndmask_b32_e32 v19, v19, v17, vcc                       // 000000007670: 00262313
	v_add_u32_e32 v17, 1, v16                                  // 000000007674: 68222081
	v_cmp_le_u32_e32 vcc, s41, v19                             // 000000007678: 7D962629
	s_nop 1                                                    // 00000000767C: BF800001
	v_cndmask_b32_e32 v19, v16, v17, vcc                       // 000000007680: 00262310
	s_nop 3                                                    // 000000007684: BF800003
	v_readfirstlane_b32 s42, v19                               // 000000007688: 7E540513
	s_nop 3                                                    // 00000000768C: BF800003
	s_mul_i32 s42, s42, s44                                    // 000000007690: 922A2C2A
	v_lshrrev_b32_e32 v16, 3, v0                               // 000000007694: 20200083
	v_mul_i32_i24_e32 v8, s44, v16                             // 000000007698: 0C10202C
	v_and_b32_e32 v16, 7, v0                                   // 00000000769C: 26200087
	v_mul_i32_i24_e32 v16, 16, v16                             // 0000000076A0: 0C202090
	v_add_u32_e32 v8, v16, v8                                  // 0000000076A4: 68101110
	s_mul_i32 s34, s5, s44                                     // 0000000076A8: 92222C05
	s_mul_i32 s34, s34, 32                                     // 0000000076AC: 9222A022
	s_add_u32 s34, s42, s34                                    // 0000000076B0: 8022222A
	v_add_u32_e32 v8, s34, v8                                  // 0000000076B4: 68101022
	s_mul_i32 s34, s44, 8                                      // 0000000076B8: 9222882C
	v_add_u32_e32 v9, s34, v8                                  // 0000000076BC: 68121022
	v_add_u32_e32 v10, s34, v9                                 // 0000000076C0: 68141222
	v_add_u32_e32 v11, s34, v10                                // 0000000076C4: 68161422
	s_mul_i32 s34, s2, 0x100                                   // 0000000076C8: 9222FF02 00000100
	v_and_b32_e32 v3, 31, v0                                   // 0000000076D0: 2606009F
	v_add_u32_e32 v3, s34, v3                                  // 0000000076D4: 68060622
	s_mul_i32 s34, s5, 32                                      // 0000000076D8: 9222A005
	v_add_u32_e32 v3, s34, v3                                  // 0000000076DC: 68060622
	v_lshlrev_b32_e32 v3, 2, v3                                // 0000000076E0: 24060682
	ds_permute_b32 v16, v32, v22                               // 0000000076E4: D87C0000 10001620
	s_waitcnt lgkmcnt(0)                                       // 0000000076EC: BF8CC07F
	v_add_f32_e32 v22, v16, v22                                // 0000000076F0: 022C2D10
	v_mul_f32_e64 v16, v28, s28                                // 0000000076F4: D1050010 0000391C
	v_log_f32_e32 v17, v22                                     // 0000000076FC: 7E224316
	v_cmp_eq_f32_e64 s[34:35], v22, 0                          // 000000007700: D0420022 00010116
	s_nop 1                                                    // 000000007708: BF800001
	v_rcp_f32_e32 v22, v22                                     // 00000000770C: 7E2C4516
	s_nop 1                                                    // 000000007710: BF800001
	v_cndmask_b32_e64 v22, v22, 0, s[34:35]                    // 000000007714: D1000016 00890116
	v_fma_f32 v2, v17, s66, v16                                // 00000000771C: D1CB0002 04408511
	v_mul_f32_e32 v22, s39, v22                                // 000000007724: 0A2C2C27
	v_mov_b32_e32 v23, v22                                     // 000000007728: 7E2E0316
	v_lshrrev_b32_e32 v16, 5, v0                               // 00000000772C: 20200085
	v_mul_i32_i24_e32 v35, 0x42, v16                           // 000000007730: 0C4620FF 00000042
	v_and_b32_e32 v16, 31, v0                                  // 000000007738: 2620009F
	v_mul_i32_i24_e32 v16, 2, v16                              // 00000000773C: 0C202082
	v_add_u32_e32 v35, v16, v35                                // 000000007740: 68464710
	s_mul_i32 s34, s5, 0x420                                   // 000000007744: 9222FF05 00000420
	v_add_u32_e32 v35, s34, v35                                // 00000000774C: 68464622
	v_lshlrev_b32_e32 v35, 2, v35                              // 000000007750: 24464682
	v_lshrrev_b32_e32 v16, 3, v0                               // 000000007754: 20200083
	v_mul_i32_i24_e32 v34, 2, v16                              // 000000007758: 0C442082
	v_and_b32_e32 v16, 7, v0                                   // 00000000775C: 26200087
	v_mul_i32_i24_e32 v16, 0x84, v16                           // 000000007760: 0C2020FF 00000084
	v_add_u32_e32 v34, v16, v34                                // 000000007768: 68444510
	s_mul_i32 s34, s5, 0x420                                   // 00000000776C: 9222FF05 00000420
	v_add_u32_e32 v34, s34, v34                                // 000000007774: 68444422
	v_lshlrev_b32_e32 v34, 2, v34                              // 000000007778: 24444482
	s_waitcnt vmcnt(0) expcnt(0) lgkmcnt(0)                    // 00000000777C: BF8C0000
	s_barrier                                                  // 000000007780: BF8A0000
	v_pk_mul_f32 v[112:113], v[22:23], v[112:113]              // 000000007784: D3B14070 1802E116
	v_pk_mul_f32 v[114:115], v[22:23], v[114:115]              // 00000000778C: D3B14072 1802E516
	v_pk_mul_f32 v[116:117], v[22:23], v[116:117]              // 000000007794: D3B14074 1802E916
	v_pk_mul_f32 v[118:119], v[22:23], v[118:119]              // 00000000779C: D3B14076 1802ED16
	v_pk_mul_f32 v[120:121], v[22:23], v[120:121]              // 0000000077A4: D3B14078 1802F116
	v_pk_mul_f32 v[122:123], v[22:23], v[122:123]              // 0000000077AC: D3B1407A 1802F516
	v_pk_mul_f32 v[124:125], v[22:23], v[124:125]              // 0000000077B4: D3B1407C 1802F916
	v_pk_mul_f32 v[126:127], v[22:23], v[126:127]              // 0000000077BC: D3B1407E 1802FD16
	v_pk_mul_f32 v[128:129], v[22:23], v[128:129]              // 0000000077C4: D3B14080 18030116
	v_pk_mul_f32 v[130:131], v[22:23], v[130:131]              // 0000000077CC: D3B14082 18030516
	v_pk_mul_f32 v[132:133], v[22:23], v[132:133]              // 0000000077D4: D3B14084 18030916
	v_pk_mul_f32 v[134:135], v[22:23], v[134:135]              // 0000000077DC: D3B14086 18030D16
	v_pk_mul_f32 v[136:137], v[22:23], v[136:137]              // 0000000077E4: D3B14088 18031116
	v_pk_mul_f32 v[138:139], v[22:23], v[138:139]              // 0000000077EC: D3B1408A 18031516
	v_pk_mul_f32 v[140:141], v[22:23], v[140:141]              // 0000000077F4: D3B1408C 18031916
	v_pk_mul_f32 v[142:143], v[22:23], v[142:143]              // 0000000077FC: D3B1408E 18031D16
	v_cmp_u_f32_e64 s[58:59], v112, v112                       // 000000007804: D048003A 0002E170
	v_add3_u32 v40, v112, v43, 1                               // 00000000780C: D1FF0028 02065770
	v_cndmask_b32_e64 v16, v40, v42, s[58:59]                  // 000000007814: D1000010 00EA5528
	v_cmp_u_f32_e64 s[58:59], v113, v113                       // 00000000781C: D048003A 0002E371
	v_add3_u32 v40, v113, v43, 1                               // 000000007824: D1FF0028 02065771
	v_cndmask_b32_e64 v17, v40, v42, s[58:59]                  // 00000000782C: D1000011 00EA5528
	v_perm_b32 v112, v17, v16, s67                             // 000000007834: D1ED0070 010E2111
	v_cmp_u_f32_e64 s[58:59], v114, v114                       // 00000000783C: D048003A 0002E572
	v_add3_u32 v40, v114, v43, 1                               // 000000007844: D1FF0028 02065772
	v_cndmask_b32_e64 v16, v40, v42, s[58:59]                  // 00000000784C: D1000010 00EA5528
	v_cmp_u_f32_e64 s[58:59], v115, v115                       // 000000007854: D048003A 0002E773
	v_add3_u32 v40, v115, v43, 1                               // 00000000785C: D1FF0028 02065773
	v_cndmask_b32_e64 v17, v40, v42, s[58:59]                  // 000000007864: D1000011 00EA5528
	v_perm_b32 v113, v17, v16, s67                             // 00000000786C: D1ED0071 010E2111
	v_cmp_u_f32_e64 s[58:59], v116, v116                       // 000000007874: D048003A 0002E974
	v_add3_u32 v40, v116, v43, 1                               // 00000000787C: D1FF0028 02065774
	v_cndmask_b32_e64 v16, v40, v42, s[58:59]                  // 000000007884: D1000010 00EA5528
	v_cmp_u_f32_e64 s[58:59], v117, v117                       // 00000000788C: D048003A 0002EB75
	v_add3_u32 v40, v117, v43, 1                               // 000000007894: D1FF0028 02065775
	v_cndmask_b32_e64 v17, v40, v42, s[58:59]                  // 00000000789C: D1000011 00EA5528
	v_perm_b32 v114, v17, v16, s67                             // 0000000078A4: D1ED0072 010E2111
	v_cmp_u_f32_e64 s[58:59], v118, v118                       // 0000000078AC: D048003A 0002ED76
	v_add3_u32 v40, v118, v43, 1                               // 0000000078B4: D1FF0028 02065776
	v_cndmask_b32_e64 v16, v40, v42, s[58:59]                  // 0000000078BC: D1000010 00EA5528
	v_cmp_u_f32_e64 s[58:59], v119, v119                       // 0000000078C4: D048003A 0002EF77
	v_add3_u32 v40, v119, v43, 1                               // 0000000078CC: D1FF0028 02065777
	v_cndmask_b32_e64 v17, v40, v42, s[58:59]                  // 0000000078D4: D1000011 00EA5528
	v_perm_b32 v115, v17, v16, s67                             // 0000000078DC: D1ED0073 010E2111
	v_cmp_u_f32_e64 s[58:59], v120, v120                       // 0000000078E4: D048003A 0002F178
	v_add3_u32 v40, v120, v43, 1                               // 0000000078EC: D1FF0028 02065778
	v_cndmask_b32_e64 v16, v40, v42, s[58:59]                  // 0000000078F4: D1000010 00EA5528
	v_cmp_u_f32_e64 s[58:59], v121, v121                       // 0000000078FC: D048003A 0002F379
	v_add3_u32 v40, v121, v43, 1                               // 000000007904: D1FF0028 02065779
	v_cndmask_b32_e64 v17, v40, v42, s[58:59]                  // 00000000790C: D1000011 00EA5528
	v_perm_b32 v116, v17, v16, s67                             // 000000007914: D1ED0074 010E2111
	v_cmp_u_f32_e64 s[58:59], v122, v122                       // 00000000791C: D048003A 0002F57A
	v_add3_u32 v40, v122, v43, 1                               // 000000007924: D1FF0028 0206577A
	v_cndmask_b32_e64 v16, v40, v42, s[58:59]                  // 00000000792C: D1000010 00EA5528
	v_cmp_u_f32_e64 s[58:59], v123, v123                       // 000000007934: D048003A 0002F77B
	v_add3_u32 v40, v123, v43, 1                               // 00000000793C: D1FF0028 0206577B
	v_cndmask_b32_e64 v17, v40, v42, s[58:59]                  // 000000007944: D1000011 00EA5528
	v_perm_b32 v117, v17, v16, s67                             // 00000000794C: D1ED0075 010E2111
	v_cmp_u_f32_e64 s[58:59], v124, v124                       // 000000007954: D048003A 0002F97C
	v_add3_u32 v40, v124, v43, 1                               // 00000000795C: D1FF0028 0206577C
	v_cndmask_b32_e64 v16, v40, v42, s[58:59]                  // 000000007964: D1000010 00EA5528
	v_cmp_u_f32_e64 s[58:59], v125, v125                       // 00000000796C: D048003A 0002FB7D
	v_add3_u32 v40, v125, v43, 1                               // 000000007974: D1FF0028 0206577D
	v_cndmask_b32_e64 v17, v40, v42, s[58:59]                  // 00000000797C: D1000011 00EA5528
	v_perm_b32 v118, v17, v16, s67                             // 000000007984: D1ED0076 010E2111
	v_cmp_u_f32_e64 s[58:59], v126, v126                       // 00000000798C: D048003A 0002FD7E
	v_add3_u32 v40, v126, v43, 1                               // 000000007994: D1FF0028 0206577E
	v_cndmask_b32_e64 v16, v40, v42, s[58:59]                  // 00000000799C: D1000010 00EA5528
	v_cmp_u_f32_e64 s[58:59], v127, v127                       // 0000000079A4: D048003A 0002FF7F
	v_add3_u32 v40, v127, v43, 1                               // 0000000079AC: D1FF0028 0206577F
	v_cndmask_b32_e64 v17, v40, v42, s[58:59]                  // 0000000079B4: D1000011 00EA5528
	v_perm_b32 v119, v17, v16, s67                             // 0000000079BC: D1ED0077 010E2111
	v_cmp_u_f32_e64 s[58:59], v128, v128                       // 0000000079C4: D048003A 00030180
	v_add3_u32 v40, v128, v43, 1                               // 0000000079CC: D1FF0028 02065780
	v_cndmask_b32_e64 v16, v40, v42, s[58:59]                  // 0000000079D4: D1000010 00EA5528
	v_cmp_u_f32_e64 s[58:59], v129, v129                       // 0000000079DC: D048003A 00030381
	v_add3_u32 v40, v129, v43, 1                               // 0000000079E4: D1FF0028 02065781
	v_cndmask_b32_e64 v17, v40, v42, s[58:59]                  // 0000000079EC: D1000011 00EA5528
	v_perm_b32 v120, v17, v16, s67                             // 0000000079F4: D1ED0078 010E2111
	v_cmp_u_f32_e64 s[58:59], v130, v130                       // 0000000079FC: D048003A 00030582
	v_add3_u32 v40, v130, v43, 1                               // 000000007A04: D1FF0028 02065782
	v_cndmask_b32_e64 v16, v40, v42, s[58:59]                  // 000000007A0C: D1000010 00EA5528
	v_cmp_u_f32_e64 s[58:59], v131, v131                       // 000000007A14: D048003A 00030783
	v_add3_u32 v40, v131, v43, 1                               // 000000007A1C: D1FF0028 02065783
	v_cndmask_b32_e64 v17, v40, v42, s[58:59]                  // 000000007A24: D1000011 00EA5528
	v_perm_b32 v121, v17, v16, s67                             // 000000007A2C: D1ED0079 010E2111
	v_cmp_u_f32_e64 s[58:59], v132, v132                       // 000000007A34: D048003A 00030984
	v_add3_u32 v40, v132, v43, 1                               // 000000007A3C: D1FF0028 02065784
	v_cndmask_b32_e64 v16, v40, v42, s[58:59]                  // 000000007A44: D1000010 00EA5528
	v_cmp_u_f32_e64 s[58:59], v133, v133                       // 000000007A4C: D048003A 00030B85
	v_add3_u32 v40, v133, v43, 1                               // 000000007A54: D1FF0028 02065785
	v_cndmask_b32_e64 v17, v40, v42, s[58:59]                  // 000000007A5C: D1000011 00EA5528
	v_perm_b32 v122, v17, v16, s67                             // 000000007A64: D1ED007A 010E2111
	v_cmp_u_f32_e64 s[58:59], v134, v134                       // 000000007A6C: D048003A 00030D86
	v_add3_u32 v40, v134, v43, 1                               // 000000007A74: D1FF0028 02065786
	v_cndmask_b32_e64 v16, v40, v42, s[58:59]                  // 000000007A7C: D1000010 00EA5528
	v_cmp_u_f32_e64 s[58:59], v135, v135                       // 000000007A84: D048003A 00030F87
	v_add3_u32 v40, v135, v43, 1                               // 000000007A8C: D1FF0028 02065787
	v_cndmask_b32_e64 v17, v40, v42, s[58:59]                  // 000000007A94: D1000011 00EA5528
	v_perm_b32 v123, v17, v16, s67                             // 000000007A9C: D1ED007B 010E2111
	v_cmp_u_f32_e64 s[58:59], v136, v136                       // 000000007AA4: D048003A 00031188
	v_add3_u32 v40, v136, v43, 1                               // 000000007AAC: D1FF0028 02065788
	v_cndmask_b32_e64 v16, v40, v42, s[58:59]                  // 000000007AB4: D1000010 00EA5528
	v_cmp_u_f32_e64 s[58:59], v137, v137                       // 000000007ABC: D048003A 00031389
	v_add3_u32 v40, v137, v43, 1                               // 000000007AC4: D1FF0028 02065789
	v_cndmask_b32_e64 v17, v40, v42, s[58:59]                  // 000000007ACC: D1000011 00EA5528
	v_perm_b32 v124, v17, v16, s67                             // 000000007AD4: D1ED007C 010E2111
	v_cmp_u_f32_e64 s[58:59], v138, v138                       // 000000007ADC: D048003A 0003158A
	v_add3_u32 v40, v138, v43, 1                               // 000000007AE4: D1FF0028 0206578A
	v_cndmask_b32_e64 v16, v40, v42, s[58:59]                  // 000000007AEC: D1000010 00EA5528
	v_cmp_u_f32_e64 s[58:59], v139, v139                       // 000000007AF4: D048003A 0003178B
	v_add3_u32 v40, v139, v43, 1                               // 000000007AFC: D1FF0028 0206578B
	v_cndmask_b32_e64 v17, v40, v42, s[58:59]                  // 000000007B04: D1000011 00EA5528
	v_perm_b32 v125, v17, v16, s67                             // 000000007B0C: D1ED007D 010E2111
	v_cmp_u_f32_e64 s[58:59], v140, v140                       // 000000007B14: D048003A 0003198C
	v_add3_u32 v40, v140, v43, 1                               // 000000007B1C: D1FF0028 0206578C
	v_cndmask_b32_e64 v16, v40, v42, s[58:59]                  // 000000007B24: D1000010 00EA5528
	v_cmp_u_f32_e64 s[58:59], v141, v141                       // 000000007B2C: D048003A 00031B8D
	v_add3_u32 v40, v141, v43, 1                               // 000000007B34: D1FF0028 0206578D
	v_cndmask_b32_e64 v17, v40, v42, s[58:59]                  // 000000007B3C: D1000011 00EA5528
	v_perm_b32 v126, v17, v16, s67                             // 000000007B44: D1ED007E 010E2111
	v_cmp_u_f32_e64 s[58:59], v142, v142                       // 000000007B4C: D048003A 00031D8E
	v_add3_u32 v40, v142, v43, 1                               // 000000007B54: D1FF0028 0206578E
	v_cndmask_b32_e64 v16, v40, v42, s[58:59]                  // 000000007B5C: D1000010 00EA5528
	v_cmp_u_f32_e64 s[58:59], v143, v143                       // 000000007B64: D048003A 00031F8F
	v_add3_u32 v40, v143, v43, 1                               // 000000007B6C: D1FF0028 0206578F
	v_cndmask_b32_e64 v17, v40, v42, s[58:59]                  // 000000007B74: D1000011 00EA5528
	v_perm_b32 v127, v17, v16, s67                             // 000000007B7C: D1ED007F 010E2111
	ds_write_b64 v35, v[112:113]                               // 000000007B84: D89A0000 00007023
	ds_write_b64 v35, v[114:115] offset:528                    // 000000007B8C: D89A0210 00007223
	ds_write_b64 v35, v[116:117] offset:1056                   // 000000007B94: D89A0420 00007423
	ds_write_b64 v35, v[118:119] offset:1584                   // 000000007B9C: D89A0630 00007623
	ds_write_b64 v35, v[120:121] offset:2112                   // 000000007BA4: D89A0840 00007823
	ds_write_b64 v35, v[122:123] offset:2640                   // 000000007BAC: D89A0A50 00007A23
	ds_write_b64 v35, v[124:125] offset:3168                   // 000000007BB4: D89A0C60 00007C23
	ds_write_b64 v35, v[126:127] offset:3696                   // 000000007BBC: D89A0E70 00007E23
	s_waitcnt vmcnt(0) expcnt(0) lgkmcnt(0)                    // 000000007BC4: BF8C0000
	ds_read_b64 v[112:113], v34                                // 000000007BC8: D8EC0000 70000022
	ds_read_b64 v[114:115], v34 offset:264                     // 000000007BD0: D8EC0108 72000022
	ds_read_b64 v[116:117], v34 offset:64                      // 000000007BD8: D8EC0040 74000022
	ds_read_b64 v[118:119], v34 offset:328                     // 000000007BE0: D8EC0148 76000022
	ds_read_b64 v[120:121], v34 offset:128                     // 000000007BE8: D8EC0080 78000022
	ds_read_b64 v[122:123], v34 offset:392                     // 000000007BF0: D8EC0188 7A000022
	ds_read_b64 v[124:125], v34 offset:192                     // 000000007BF8: D8EC00C0 7C000022
	ds_read_b64 v[126:127], v34 offset:456                     // 000000007C00: D8EC01C8 7E000022
	s_waitcnt vmcnt(0) expcnt(0) lgkmcnt(0)                    // 000000007C08: BF8C0000
	buffer_store_dwordx4 v[112:115], v8, s[20:23], 0 offen     // 000000007C0C: E07C1000 80057008
	buffer_store_dwordx4 v[116:119], v9, s[20:23], 0 offen     // 000000007C14: E07C1000 80057409
	buffer_store_dwordx4 v[120:123], v10, s[20:23], 0 offen    // 000000007C1C: E07C1000 8005780A
	buffer_store_dwordx4 v[124:127], v11, s[20:23], 0 offen    // 000000007C24: E07C1000 80057C0B
	v_pk_mul_f32 v[144:145], v[22:23], v[144:145]              // 000000007C2C: D3B14090 18032116
	v_pk_mul_f32 v[146:147], v[22:23], v[146:147]              // 000000007C34: D3B14092 18032516
	v_pk_mul_f32 v[148:149], v[22:23], v[148:149]              // 000000007C3C: D3B14094 18032916
	v_pk_mul_f32 v[150:151], v[22:23], v[150:151]              // 000000007C44: D3B14096 18032D16
	v_pk_mul_f32 v[152:153], v[22:23], v[152:153]              // 000000007C4C: D3B14098 18033116
	v_pk_mul_f32 v[154:155], v[22:23], v[154:155]              // 000000007C54: D3B1409A 18033516
	v_pk_mul_f32 v[156:157], v[22:23], v[156:157]              // 000000007C5C: D3B1409C 18033916
	v_pk_mul_f32 v[158:159], v[22:23], v[158:159]              // 000000007C64: D3B1409E 18033D16
	v_pk_mul_f32 v[160:161], v[22:23], v[160:161]              // 000000007C6C: D3B140A0 18034116
	v_pk_mul_f32 v[162:163], v[22:23], v[162:163]              // 000000007C74: D3B140A2 18034516
	v_pk_mul_f32 v[164:165], v[22:23], v[164:165]              // 000000007C7C: D3B140A4 18034916
	v_pk_mul_f32 v[166:167], v[22:23], v[166:167]              // 000000007C84: D3B140A6 18034D16
	v_pk_mul_f32 v[168:169], v[22:23], v[168:169]              // 000000007C8C: D3B140A8 18035116
	v_pk_mul_f32 v[170:171], v[22:23], v[170:171]              // 000000007C94: D3B140AA 18035516
	v_pk_mul_f32 v[172:173], v[22:23], v[172:173]              // 000000007C9C: D3B140AC 18035916
	v_pk_mul_f32 v[174:175], v[22:23], v[174:175]              // 000000007CA4: D3B140AE 18035D16
	v_cmp_u_f32_e64 s[58:59], v144, v144                       // 000000007CAC: D048003A 00032190
	v_add3_u32 v40, v144, v43, 1                               // 000000007CB4: D1FF0028 02065790
	v_cndmask_b32_e64 v16, v40, v42, s[58:59]                  // 000000007CBC: D1000010 00EA5528
	v_cmp_u_f32_e64 s[58:59], v145, v145                       // 000000007CC4: D048003A 00032391
	v_add3_u32 v40, v145, v43, 1                               // 000000007CCC: D1FF0028 02065791
	v_cndmask_b32_e64 v17, v40, v42, s[58:59]                  // 000000007CD4: D1000011 00EA5528
	v_perm_b32 v144, v17, v16, s67                             // 000000007CDC: D1ED0090 010E2111
	v_cmp_u_f32_e64 s[58:59], v146, v146                       // 000000007CE4: D048003A 00032592
	v_add3_u32 v40, v146, v43, 1                               // 000000007CEC: D1FF0028 02065792
	v_cndmask_b32_e64 v16, v40, v42, s[58:59]                  // 000000007CF4: D1000010 00EA5528
	v_cmp_u_f32_e64 s[58:59], v147, v147                       // 000000007CFC: D048003A 00032793
	v_add3_u32 v40, v147, v43, 1                               // 000000007D04: D1FF0028 02065793
	v_cndmask_b32_e64 v17, v40, v42, s[58:59]                  // 000000007D0C: D1000011 00EA5528
	v_perm_b32 v145, v17, v16, s67                             // 000000007D14: D1ED0091 010E2111
	v_cmp_u_f32_e64 s[58:59], v148, v148                       // 000000007D1C: D048003A 00032994
	v_add3_u32 v40, v148, v43, 1                               // 000000007D24: D1FF0028 02065794
	v_cndmask_b32_e64 v16, v40, v42, s[58:59]                  // 000000007D2C: D1000010 00EA5528
	v_cmp_u_f32_e64 s[58:59], v149, v149                       // 000000007D34: D048003A 00032B95
	v_add3_u32 v40, v149, v43, 1                               // 000000007D3C: D1FF0028 02065795
	v_cndmask_b32_e64 v17, v40, v42, s[58:59]                  // 000000007D44: D1000011 00EA5528
	v_perm_b32 v146, v17, v16, s67                             // 000000007D4C: D1ED0092 010E2111
	v_cmp_u_f32_e64 s[58:59], v150, v150                       // 000000007D54: D048003A 00032D96
	v_add3_u32 v40, v150, v43, 1                               // 000000007D5C: D1FF0028 02065796
	v_cndmask_b32_e64 v16, v40, v42, s[58:59]                  // 000000007D64: D1000010 00EA5528
	v_cmp_u_f32_e64 s[58:59], v151, v151                       // 000000007D6C: D048003A 00032F97
	v_add3_u32 v40, v151, v43, 1                               // 000000007D74: D1FF0028 02065797
	v_cndmask_b32_e64 v17, v40, v42, s[58:59]                  // 000000007D7C: D1000011 00EA5528
	v_perm_b32 v147, v17, v16, s67                             // 000000007D84: D1ED0093 010E2111
	v_cmp_u_f32_e64 s[58:59], v152, v152                       // 000000007D8C: D048003A 00033198
	v_add3_u32 v40, v152, v43, 1                               // 000000007D94: D1FF0028 02065798
	v_cndmask_b32_e64 v16, v40, v42, s[58:59]                  // 000000007D9C: D1000010 00EA5528
	v_cmp_u_f32_e64 s[58:59], v153, v153                       // 000000007DA4: D048003A 00033399
	v_add3_u32 v40, v153, v43, 1                               // 000000007DAC: D1FF0028 02065799
	v_cndmask_b32_e64 v17, v40, v42, s[58:59]                  // 000000007DB4: D1000011 00EA5528
	v_perm_b32 v148, v17, v16, s67                             // 000000007DBC: D1ED0094 010E2111
	v_cmp_u_f32_e64 s[58:59], v154, v154                       // 000000007DC4: D048003A 0003359A
	v_add3_u32 v40, v154, v43, 1                               // 000000007DCC: D1FF0028 0206579A
	v_cndmask_b32_e64 v16, v40, v42, s[58:59]                  // 000000007DD4: D1000010 00EA5528
	v_cmp_u_f32_e64 s[58:59], v155, v155                       // 000000007DDC: D048003A 0003379B
	v_add3_u32 v40, v155, v43, 1                               // 000000007DE4: D1FF0028 0206579B
	v_cndmask_b32_e64 v17, v40, v42, s[58:59]                  // 000000007DEC: D1000011 00EA5528
	v_perm_b32 v149, v17, v16, s67                             // 000000007DF4: D1ED0095 010E2111
	v_cmp_u_f32_e64 s[58:59], v156, v156                       // 000000007DFC: D048003A 0003399C
	v_add3_u32 v40, v156, v43, 1                               // 000000007E04: D1FF0028 0206579C
	v_cndmask_b32_e64 v16, v40, v42, s[58:59]                  // 000000007E0C: D1000010 00EA5528
	v_cmp_u_f32_e64 s[58:59], v157, v157                       // 000000007E14: D048003A 00033B9D
	v_add3_u32 v40, v157, v43, 1                               // 000000007E1C: D1FF0028 0206579D
	v_cndmask_b32_e64 v17, v40, v42, s[58:59]                  // 000000007E24: D1000011 00EA5528
	v_perm_b32 v150, v17, v16, s67                             // 000000007E2C: D1ED0096 010E2111
	v_cmp_u_f32_e64 s[58:59], v158, v158                       // 000000007E34: D048003A 00033D9E
	v_add3_u32 v40, v158, v43, 1                               // 000000007E3C: D1FF0028 0206579E
	v_cndmask_b32_e64 v16, v40, v42, s[58:59]                  // 000000007E44: D1000010 00EA5528
	v_cmp_u_f32_e64 s[58:59], v159, v159                       // 000000007E4C: D048003A 00033F9F
	v_add3_u32 v40, v159, v43, 1                               // 000000007E54: D1FF0028 0206579F
	v_cndmask_b32_e64 v17, v40, v42, s[58:59]                  // 000000007E5C: D1000011 00EA5528
	v_perm_b32 v151, v17, v16, s67                             // 000000007E64: D1ED0097 010E2111
	v_cmp_u_f32_e64 s[58:59], v160, v160                       // 000000007E6C: D048003A 000341A0
	v_add3_u32 v40, v160, v43, 1                               // 000000007E74: D1FF0028 020657A0
	v_cndmask_b32_e64 v16, v40, v42, s[58:59]                  // 000000007E7C: D1000010 00EA5528
	v_cmp_u_f32_e64 s[58:59], v161, v161                       // 000000007E84: D048003A 000343A1
	v_add3_u32 v40, v161, v43, 1                               // 000000007E8C: D1FF0028 020657A1
	v_cndmask_b32_e64 v17, v40, v42, s[58:59]                  // 000000007E94: D1000011 00EA5528
	v_perm_b32 v152, v17, v16, s67                             // 000000007E9C: D1ED0098 010E2111
	v_cmp_u_f32_e64 s[58:59], v162, v162                       // 000000007EA4: D048003A 000345A2
	v_add3_u32 v40, v162, v43, 1                               // 000000007EAC: D1FF0028 020657A2
	v_cndmask_b32_e64 v16, v40, v42, s[58:59]                  // 000000007EB4: D1000010 00EA5528
	v_cmp_u_f32_e64 s[58:59], v163, v163                       // 000000007EBC: D048003A 000347A3
	v_add3_u32 v40, v163, v43, 1                               // 000000007EC4: D1FF0028 020657A3
	v_cndmask_b32_e64 v17, v40, v42, s[58:59]                  // 000000007ECC: D1000011 00EA5528
	v_perm_b32 v153, v17, v16, s67                             // 000000007ED4: D1ED0099 010E2111
	v_cmp_u_f32_e64 s[58:59], v164, v164                       // 000000007EDC: D048003A 000349A4
	v_add3_u32 v40, v164, v43, 1                               // 000000007EE4: D1FF0028 020657A4
	v_cndmask_b32_e64 v16, v40, v42, s[58:59]                  // 000000007EEC: D1000010 00EA5528
	v_cmp_u_f32_e64 s[58:59], v165, v165                       // 000000007EF4: D048003A 00034BA5
	v_add3_u32 v40, v165, v43, 1                               // 000000007EFC: D1FF0028 020657A5
	v_cndmask_b32_e64 v17, v40, v42, s[58:59]                  // 000000007F04: D1000011 00EA5528
	v_perm_b32 v154, v17, v16, s67                             // 000000007F0C: D1ED009A 010E2111
	v_cmp_u_f32_e64 s[58:59], v166, v166                       // 000000007F14: D048003A 00034DA6
	v_add3_u32 v40, v166, v43, 1                               // 000000007F1C: D1FF0028 020657A6
	v_cndmask_b32_e64 v16, v40, v42, s[58:59]                  // 000000007F24: D1000010 00EA5528
	v_cmp_u_f32_e64 s[58:59], v167, v167                       // 000000007F2C: D048003A 00034FA7
	v_add3_u32 v40, v167, v43, 1                               // 000000007F34: D1FF0028 020657A7
	v_cndmask_b32_e64 v17, v40, v42, s[58:59]                  // 000000007F3C: D1000011 00EA5528
	v_perm_b32 v155, v17, v16, s67                             // 000000007F44: D1ED009B 010E2111
	v_cmp_u_f32_e64 s[58:59], v168, v168                       // 000000007F4C: D048003A 000351A8
	v_add3_u32 v40, v168, v43, 1                               // 000000007F54: D1FF0028 020657A8
	v_cndmask_b32_e64 v16, v40, v42, s[58:59]                  // 000000007F5C: D1000010 00EA5528
	v_cmp_u_f32_e64 s[58:59], v169, v169                       // 000000007F64: D048003A 000353A9
	v_add3_u32 v40, v169, v43, 1                               // 000000007F6C: D1FF0028 020657A9
	v_cndmask_b32_e64 v17, v40, v42, s[58:59]                  // 000000007F74: D1000011 00EA5528
	v_perm_b32 v156, v17, v16, s67                             // 000000007F7C: D1ED009C 010E2111
	v_cmp_u_f32_e64 s[58:59], v170, v170                       // 000000007F84: D048003A 000355AA
	v_add3_u32 v40, v170, v43, 1                               // 000000007F8C: D1FF0028 020657AA
	v_cndmask_b32_e64 v16, v40, v42, s[58:59]                  // 000000007F94: D1000010 00EA5528
	v_cmp_u_f32_e64 s[58:59], v171, v171                       // 000000007F9C: D048003A 000357AB
	v_add3_u32 v40, v171, v43, 1                               // 000000007FA4: D1FF0028 020657AB
	v_cndmask_b32_e64 v17, v40, v42, s[58:59]                  // 000000007FAC: D1000011 00EA5528
	v_perm_b32 v157, v17, v16, s67                             // 000000007FB4: D1ED009D 010E2111
	v_cmp_u_f32_e64 s[58:59], v172, v172                       // 000000007FBC: D048003A 000359AC
	v_add3_u32 v40, v172, v43, 1                               // 000000007FC4: D1FF0028 020657AC
	v_cndmask_b32_e64 v16, v40, v42, s[58:59]                  // 000000007FCC: D1000010 00EA5528
	v_cmp_u_f32_e64 s[58:59], v173, v173                       // 000000007FD4: D048003A 00035BAD
	v_add3_u32 v40, v173, v43, 1                               // 000000007FDC: D1FF0028 020657AD
	v_cndmask_b32_e64 v17, v40, v42, s[58:59]                  // 000000007FE4: D1000011 00EA5528
	v_perm_b32 v158, v17, v16, s67                             // 000000007FEC: D1ED009E 010E2111
	v_cmp_u_f32_e64 s[58:59], v174, v174                       // 000000007FF4: D048003A 00035DAE
	v_add3_u32 v40, v174, v43, 1                               // 000000007FFC: D1FF0028 020657AE
	v_cndmask_b32_e64 v16, v40, v42, s[58:59]                  // 000000008004: D1000010 00EA5528
	v_cmp_u_f32_e64 s[58:59], v175, v175                       // 00000000800C: D048003A 00035FAF
	v_add3_u32 v40, v175, v43, 1                               // 000000008014: D1FF0028 020657AF
	v_cndmask_b32_e64 v17, v40, v42, s[58:59]                  // 00000000801C: D1000011 00EA5528
	v_perm_b32 v159, v17, v16, s67                             // 000000008024: D1ED009F 010E2111
	ds_write_b64 v35, v[144:145]                               // 00000000802C: D89A0000 00009023
	ds_write_b64 v35, v[146:147] offset:528                    // 000000008034: D89A0210 00009223
	ds_write_b64 v35, v[148:149] offset:1056                   // 00000000803C: D89A0420 00009423
	ds_write_b64 v35, v[150:151] offset:1584                   // 000000008044: D89A0630 00009623
	ds_write_b64 v35, v[152:153] offset:2112                   // 00000000804C: D89A0840 00009823
	ds_write_b64 v35, v[154:155] offset:2640                   // 000000008054: D89A0A50 00009A23
	ds_write_b64 v35, v[156:157] offset:3168                   // 00000000805C: D89A0C60 00009C23
	ds_write_b64 v35, v[158:159] offset:3696                   // 000000008064: D89A0E70 00009E23
	s_waitcnt vmcnt(0) expcnt(0) lgkmcnt(0)                    // 00000000806C: BF8C0000
	ds_read_b64 v[144:145], v34                                // 000000008070: D8EC0000 90000022
	ds_read_b64 v[146:147], v34 offset:264                     // 000000008078: D8EC0108 92000022
	ds_read_b64 v[148:149], v34 offset:64                      // 000000008080: D8EC0040 94000022
	ds_read_b64 v[150:151], v34 offset:328                     // 000000008088: D8EC0148 96000022
	ds_read_b64 v[152:153], v34 offset:128                     // 000000008090: D8EC0080 98000022
	ds_read_b64 v[154:155], v34 offset:392                     // 000000008098: D8EC0188 9A000022
	ds_read_b64 v[156:157], v34 offset:192                     // 0000000080A0: D8EC00C0 9C000022
	ds_read_b64 v[158:159], v34 offset:456                     // 0000000080A8: D8EC01C8 9E000022
	s_waitcnt vmcnt(0) expcnt(0) lgkmcnt(0)                    // 0000000080B0: BF8C0000
	buffer_store_dwordx4 v[144:147], v8, s[20:23], 0 offen offset:128// 0000000080B4: E07C1080 80059008
	buffer_store_dwordx4 v[148:151], v9, s[20:23], 0 offen offset:128// 0000000080BC: E07C1080 80059409
	buffer_store_dwordx4 v[152:155], v10, s[20:23], 0 offen offset:128// 0000000080C4: E07C1080 8005980A
	buffer_store_dwordx4 v[156:159], v11, s[20:23], 0 offen offset:128// 0000000080CC: E07C1080 80059C0B
	s_cmp_eq_u32 s33, 0                                        // 0000000080D4: BF068021
	s_cbranch_scc1 label_117D                                  // 0000000080D8: BF850006
	v_cmp_ge_f32_e64 s[34:35], v2, v31                         // 0000000080DC: D0460022 00023F02
	v_cndmask_b32_e64 v2, v31, v2, s[34:35]                    // 0000000080E4: D1000002 008A051F
	buffer_store_dword v2, v3, s[24:27], 0 offen               // 0000000080EC: E0701000 80060203

00000000000080f4 <label_117D>:
	s_waitcnt vmcnt(0) expcnt(0) lgkmcnt(0)                    // 0000000080F4: BF8C0000
	s_endpgm                                                   // 0000000080F8: BF810000
